;; amdgpu-corpus repo=ROCm/aiter kind=harvested arch=n/a opt=n/a

/root/src/amdgpu-assembly/repos/ROCm__aiter/hsa/gfx942/fmha_v3_fwd/MI300/fwd_hd128_bf16_rtna.co:	file format elf64-amdgpu

Disassembly of section .text:

0000000000003300 <_ZN5aiter24fmha_fwd_hd128_bf16_rtnaE>:
	s_and_b32 s1, s1, 0xffff                                   // 000000003300: 8601FF01 0000FFFF
	s_load_dwordx2 s[20:21], s[0:1], 0x0                       // 000000003308: C0060500 00000000
	s_load_dwordx2 s[8:9], s[0:1], 0x10                        // 000000003310: C0060200 00000010
	s_load_dwordx2 s[12:13], s[0:1], 0x20                      // 000000003318: C0060300 00000020
	s_load_dwordx2 s[16:17], s[0:1], 0x30                      // 000000003320: C0060400 00000030
	s_load_dwordx2 s[24:25], s[0:1], 0x40                      // 000000003328: C0060600 00000040
	s_load_dword s28, s[0:1], 0x50                             // 000000003330: C0020700 00000050
	s_load_dword s30, s[0:1], 0x60                             // 000000003338: C0020780 00000060
	s_load_dword s62, s[0:1], 0x70                             // 000000003340: C0020F80 00000070
	s_load_dword s31, s[0:1], 0x80                             // 000000003348: C00207C0 00000080
	s_load_dword s32, s[0:1], 0x90                             // 000000003350: C0020800 00000090
	s_load_dword s33, s[0:1], 0xa0                             // 000000003358: C0020840 000000A0
	s_load_dword s46, s[0:1], 0xb0                             // 000000003360: C0020B80 000000B0
	s_load_dword s61, s[0:1], 0xc0                             // 000000003368: C0020F40 000000C0
	s_load_dword s47, s[0:1], 0xd0                             // 000000003370: C0020BC0 000000D0
	s_load_dword s48, s[0:1], 0xe0                             // 000000003378: C0020C00 000000E0
	s_load_dword s34, s[0:1], 0xf0                             // 000000003380: C0020880 000000F0
	s_load_dword s37, s[0:1], 0x100                            // 000000003388: C0020940 00000100
	s_load_dword s7, s[0:1], 0x110                             // 000000003390: C00201C0 00000110
	s_load_dword s96, s[0:1], 0x140                            // 000000003398: C0021800 00000140
	s_load_dword s80, s[0:1], 0x150                            // 0000000033A0: C0021400 00000150
	s_load_dword s81, s[0:1], 0x160                            // 0000000033A8: C0021440 00000160
	s_load_dword s82, s[0:1], 0x170                            // 0000000033B0: C0021480 00000170
	s_load_dword s83, s[0:1], 0x180                            // 0000000033B8: C00214C0 00000180
	s_load_dword s84, s[0:1], 0x190                            // 0000000033C0: C0021500 00000190
	s_load_dword s85, s[0:1], 0x1a0                            // 0000000033C8: C0021540 000001A0
	s_load_dwordx2 s[76:77], s[0:1], 0x1b0                     // 0000000033D0: C0061300 000001B0
	s_load_dwordx2 s[78:79], s[0:1], 0x1c0                     // 0000000033D8: C0061380 000001C0
	s_load_dword s86, s[0:1], 0x1d0                            // 0000000033E0: C0021580 000001D0
	s_load_dwordx2 s[88:89], s[0:1], 0x1e0                     // 0000000033E8: C0061600 000001E0
	s_load_dwordx2 s[90:91], s[0:1], 0x1f0                     // 0000000033F0: C0061680 000001F0
	v_lshrrev_b32_e32 v1, 10, v0                               // 0000000033F8: 2002008A
	v_lshrrev_b32_e32 v2, 10, v1                               // 0000000033FC: 2004028A
	v_and_b32_e32 v2, 0x3ff, v2                                // 000000003400: 260404FF 000003FF
	v_and_b32_e32 v1, 0x3ff, v1                                // 000000003408: 260202FF 000003FF
	v_and_b32_e32 v0, 0x3ff, v0                                // 000000003410: 260000FF 000003FF
	v_lshrrev_b32_e32 v3, 6, v0                                // 000000003418: 20060086
	v_and_b32_e32 v0, 63, v0                                   // 00000000341C: 260000BF
	s_mov_b32 s2, s2                                           // 000000003420: BE820002
	s_mov_b32 s3, s3                                           // 000000003424: BE830003
	s_mov_b32 s4, s4                                           // 000000003428: BE840004
	v_readfirstlane_b32 s5, v3                                 // 00000000342C: 7E0A0503
	s_waitcnt lgkmcnt(0)                                       // 000000003430: BF8CC07F
	s_mul_i32 s40, s30, s62                                    // 000000003434: 92283E1E
	s_mov_b32 s10, s40                                         // 000000003438: BE8A0028
	s_mul_i32 s40, s30, s83                                    // 00000000343C: 9228531E
	s_mov_b32 s22, s40                                         // 000000003440: BE960028
	s_mul_i32 s40, s7, s61                                     // 000000003444: 92283D07
	s_mov_b32 s14, s40                                         // 000000003448: BE8E0028
	s_mul_i32 s40, s7, s80                                     // 00000000344C: 92285007
	s_mov_b32 s18, s40                                         // 000000003450: BE920028
	s_mul_i32 s40, s30, 4                                      // 000000003454: 9228841E
	s_mov_b32 s26, s40                                         // 000000003458: BE9A0028
	s_mov_b32 s23, 0x20000                                     // 00000000345C: BE9700FF 00020000
	s_mov_b32 s11, 0x20000                                     // 000000003464: BE8B00FF 00020000
	s_mov_b32 s15, 0x20000                                     // 00000000346C: BE8F00FF 00020000
	s_mov_b32 s19, 0x20000                                     // 000000003474: BE9300FF 00020000
	s_mov_b32 s27, 0x20000                                     // 00000000347C: BE9B00FF 00020000
	s_and_b32 s21, s21, 0xffff                                 // 000000003484: 8615FF15 0000FFFF
	s_and_b32 s9, s9, 0xffff                                   // 00000000348C: 8609FF09 0000FFFF
	s_and_b32 s13, s13, 0xffff                                 // 000000003494: 860DFF0D 0000FFFF
	s_and_b32 s17, s17, 0xffff                                 // 00000000349C: 8611FF11 0000FFFF
	s_and_b32 s25, s25, 0xffff                                 // 0000000034A4: 8619FF19 0000FFFF
	s_nop 0                                                    // 0000000034AC: BF800000
	s_nop 0                                                    // 0000000034B0: BF800000
	s_mov_b32 s64, s3                                          // 0000000034B4: BEC00003
	s_mov_b32 s65, s46                                         // 0000000034B8: BEC1002E
	v_cvt_f32_u32_e32 v16, s65                                 // 0000000034BC: 7E200C41
	s_sub_i32 s40, 0, s65                                      // 0000000034C0: 81A84180
	v_rcp_iflag_f32_e32 v16, v16                               // 0000000034C4: 7E204710
	s_nop 0                                                    // 0000000034C8: BF800000
	v_mul_f32_e32 v16, 0x4f7ffffe, v16                         // 0000000034CC: 0A2020FF 4F7FFFFE
	v_cvt_u32_f32_e32 v16, v16                                 // 0000000034D4: 7E200F10
	v_mul_lo_u32 v17, s40, v16                                 // 0000000034D8: D2850011 00022028
	v_mul_hi_u32 v17, v16, v17                                 // 0000000034E0: D2860011 00022310
	v_add_u32_e32 v16, v16, v17                                // 0000000034E8: 68202310
	v_mul_hi_u32 v16, s64, v16                                 // 0000000034EC: D2860010 00022040
	v_mul_lo_u32 v17, v16, s65                                 // 0000000034F4: D2850011 00008310
	v_sub_u32_e32 v19, s64, v17                                // 0000000034FC: 6A262240
	v_add_u32_e32 v18, 1, v16                                  // 000000003500: 68242081
	v_cmp_le_u32_e32 vcc, s65, v19                             // 000000003504: 7D962641
	v_subrev_u32_e32 v17, s65, v19                             // 000000003508: 6C222641
	s_nop 0                                                    // 00000000350C: BF800000
	v_cndmask_b32_e32 v16, v16, v18, vcc                       // 000000003510: 00202510
	v_cndmask_b32_e32 v19, v19, v17, vcc                       // 000000003514: 00262313
	v_add_u32_e32 v17, 1, v16                                  // 000000003518: 68222081
	v_cmp_le_u32_e32 vcc, s65, v19                             // 00000000351C: 7D962641
	s_nop 1                                                    // 000000003520: BF800001
	v_cndmask_b32_e32 v19, v16, v17, vcc                       // 000000003524: 00262310
	s_nop 3                                                    // 000000003528: BF800003
	v_readfirstlane_b32 s66, v19                               // 00000000352C: 7E840513
	s_nop 3                                                    // 000000003530: BF800003
	s_mov_b32 s49, 0x7060302                                   // 000000003534: BEB100FF 07060302
	s_mov_b32 s50, 0x5040100                                   // 00000000353C: BEB200FF 05040100
	v_mov_b32_e32 v41, 0xffff0000                              // 000000003544: 7E5202FF FFFF0000
	v_mov_b32_e32 v42, 0x7fff0000                              // 00000000354C: 7E5402FF 7FFF0000
	v_mov_b32_e32 v43, 0x7fff                                  // 000000003554: 7E5602FF 00007FFF
	v_lshrrev_b32_e32 v16, 5, v0                               // 00000000355C: 20200085
	v_sub_u32_e32 v16, 1, v16                                  // 000000003560: 6A202081
	v_mul_i32_i24_e32 v32, 0x80, v16                           // 000000003564: 0C4020FF 00000080
	v_and_b32_e32 v16, 31, v0                                  // 00000000356C: 2620009F
	v_mul_i32_i24_e32 v16, 4, v16                              // 000000003570: 0C202084
	v_add_u32_e32 v32, v16, v32                                // 000000003574: 68404110
	s_mov_b32 s60, 0                                           // 000000003578: BEBC0080
	s_mov_b32 s35, 0                                           // 00000000357C: BEA30080
	s_mul_i32 s43, 32, s61                                     // 000000003580: 922B3DA0
	s_mul_i32 s44, 32, s80                                     // 000000003584: 922C50A0
	s_mul_i32 s40, s4, s33                                     // 000000003588: 92282104
	s_mul_hi_u32 s42, s4, s33                                  // 00000000358C: 962A2104
	s_and_b32 s42, s42, 0xffff                                 // 000000003590: 862AFF2A 0000FFFF
	s_mul_i32 s41, s3, s32                                     // 000000003598: 92292003
	s_add_u32 s40, s40, s41                                    // 00000000359C: 80282928
	s_add_u32 s8, s40, s8                                      // 0000000035A0: 80080828
	s_addc_u32 s9, s42, s9                                     // 0000000035A4: 8209092A
	s_mul_i32 s40, s4, s85                                     // 0000000035A8: 92285504
	s_mul_hi_u32 s42, s4, s85                                  // 0000000035AC: 962A5504
	s_and_b32 s42, s42, 0xffff                                 // 0000000035B0: 862AFF2A 0000FFFF
	s_mul_i32 s41, s3, s84                                     // 0000000035B8: 92295403
	s_add_u32 s40, s40, s41                                    // 0000000035BC: 80282928
	s_add_u32 s20, s40, s20                                    // 0000000035C0: 80141428
	s_addc_u32 s21, s42, s21                                   // 0000000035C4: 8215152A
	s_mul_i32 s40, s96, s86                                    // 0000000035C8: 92285660
	s_mul_i32 s40, s4, s40                                     // 0000000035CC: 92282804
	s_mul_i32 s41, s3, s86                                     // 0000000035D0: 92295603
	s_nop 0                                                    // 0000000035D4: BF800000
	s_add_i32 s40, s40, s41                                    // 0000000035D8: 81282928
	s_add_u32 s24, s40, s24                                    // 0000000035DC: 80181828
	s_addc_u32 s25, 0, s25                                     // 0000000035E0: 82191980
	s_mul_i32 s40, s4, s48                                     // 0000000035E4: 92283004
	s_mul_hi_u32 s42, s4, s48                                  // 0000000035E8: 962A3004
	s_and_b32 s42, s42, 0xffff                                 // 0000000035EC: 862AFF2A 0000FFFF
	s_mul_i32 s41, s66, s47                                    // 0000000035F4: 92292F42
	s_add_u32 s40, s40, s41                                    // 0000000035F8: 80282928
	s_add_u32 s12, s40, s12                                    // 0000000035FC: 800C0C28
	s_addc_u32 s13, s42, s13                                   // 000000003600: 820D0D2A
	s_mul_i32 s40, s4, s82                                     // 000000003604: 92285204
	s_mul_hi_u32 s42, s4, s82                                  // 000000003608: 962A5204
	s_and_b32 s42, s42, 0xffff                                 // 00000000360C: 862AFF2A 0000FFFF
	s_mul_i32 s41, s66, s81                                    // 000000003614: 92295142
	s_add_u32 s40, s40, s41                                    // 000000003618: 80282928
	s_add_u32 s16, s40, s16                                    // 00000000361C: 80101028
	s_addc_u32 s17, s42, s17                                   // 000000003620: 8211112A
	s_mov_b32 s52, 0                                           // 000000003624: BEB40080
	s_mov_b32 s53, 32                                          // 000000003628: BEB500A0
	s_mov_b32 s36, 0                                           // 00000000362C: BEA40080
	s_mov_b32 s29, 0x3fb8aa3b                                  // 000000003630: BE9D00FF 3FB8AA3B
	v_mov_b32_e32 v31, 0xff800000                              // 000000003638: 7E3E02FF FF800000
	s_mov_b32 s59, 0                                           // 000000003640: BEBB0080
	s_lshr_b32 s54, s7, 5                                      // 000000003644: 8F368507
	s_lshl_b32 s54, s54, 5                                     // 000000003648: 8E368536
	v_lshrrev_b32_e32 v16, 5, v0                               // 00000000364C: 20200085
	v_mul_i32_i24_e32 v30, 4, v16                              // 000000003650: 0C3C2084
	s_mov_b32 s38, s7                                          // 000000003654: BEA60007
	s_mov_b32 s39, 0                                           // 000000003658: BEA70080
	v_mov_b32_e32 v17, s29                                     // 00000000365C: 7E22021D
	v_mov_b32_e32 v16, s28                                     // 000000003660: 7E20021C
	v_mul_f32_e32 v16, s29, v16                                // 000000003664: 0A20201D
	v_rcp_f32_e32 v17, v17                                     // 000000003668: 7E224511
	v_mov_b32_e32 v22, 0                                       // 00000000366C: 7E2C0280
	v_mov_b32_e32 v28, 0xff7fffff                              // 000000003670: 7E3802FF FF7FFFFF
	v_mov_b32_e32 v20, 0                                       // 000000003678: 7E280280
	v_mov_b32_e32 v22, 0                                       // 00000000367C: 7E2C0280
	v_readfirstlane_b32 s56, v16                               // 000000003680: 7E700510
	v_readfirstlane_b32 s45, v17                               // 000000003684: 7E5A0511
	v_rcp_f32_e32 v16, v16                                     // 000000003688: 7E204510
	s_nop 1                                                    // 00000000368C: BF800001
	v_mul_f32_e32 v16, v28, v16                                // 000000003690: 0A20211C
	v_max_f32_e32 v28, v28, v16                                // 000000003694: 1638211C
	s_mul_i32 s63, s2, s31                                     // 000000003698: 923F1F02
	v_lshlrev_b32_e32 v8, 2, v0                                // 00000000369C: 24100082
	s_mul_i32 s40, s5, s62                                     // 0000000036A0: 92283E05
	v_add_u32_e32 v8, s40, v8                                  // 0000000036A4: 68101028
	s_mul_i32 s41, 8, s62                                      // 0000000036A8: 92293E88
	v_add_u32_e32 v9, s41, v8                                  // 0000000036AC: 68121029
	v_add_u32_e32 v10, s41, v9                                 // 0000000036B0: 68141229
	v_add_u32_e32 v11, s41, v10                                // 0000000036B4: 68161429
	v_add_u32_e32 v8, s63, v8                                  // 0000000036B8: 6810103F
	v_add_u32_e32 v9, s63, v9                                  // 0000000036BC: 6812123F
	v_add_u32_e32 v10, s63, v10                                // 0000000036C0: 6814143F
	v_add_u32_e32 v11, s63, v11                                // 0000000036C4: 6816163F
	s_mul_i32 s40, s5, 0x110                                   // 0000000036C8: 9228FF05 00000110
	s_add_u32 s58, 0x4400, s40                                 // 0000000036D0: 803A28FF 00004400
	s_mov_b32 s57, s56                                         // 0000000036D8: BEB90038
	s_mov_b32 s40, 0                                           // 0000000036DC: BEA80080
	s_add_u32 m0, s40, s58                                     // 0000000036E0: 807C3A28
	s_mul_i32 s40, 0, s62                                      // 0000000036E4: 92283E80
	v_add_u32_e32 v4, s40, v8                                  // 0000000036E8: 68081028
	v_add_u32_e32 v5, s40, v9                                  // 0000000036EC: 680A1228
	v_add_u32_e32 v6, s40, v10                                 // 0000000036F0: 680C1428
	v_add_u32_e32 v7, s40, v11                                 // 0000000036F4: 680E1628
	buffer_load_dword v4, s[8:11], s59 offen lds               // 0000000036F8: E0511000 3B020004
	s_add_u32 m0, 0x880, m0                                    // 000000003700: 807C7CFF 00000880
	buffer_load_dword v5, s[8:11], s59 offen lds               // 000000003708: E0511000 3B020005
	s_add_u32 m0, 0x880, m0                                    // 000000003710: 807C7CFF 00000880
	buffer_load_dword v6, s[8:11], s59 offen lds               // 000000003718: E0511000 3B020006
	s_add_u32 m0, 0x880, m0                                    // 000000003720: 807C7CFF 00000880
	buffer_load_dword v7, s[8:11], s59 offen lds               // 000000003728: E0511000 3B020007
	s_add_u32 m0, 0x880, m0                                    // 000000003730: 807C7CFF 00000880
	s_mov_b32 s40, 0x2200                                      // 000000003738: BEA800FF 00002200
	s_add_u32 m0, s40, s58                                     // 000000003740: 807C3A28
	s_mul_i32 s40, 32, s62                                     // 000000003744: 92283EA0
	v_add_u32_e32 v4, s40, v8                                  // 000000003748: 68081028
	v_add_u32_e32 v5, s40, v9                                  // 00000000374C: 680A1228
	v_add_u32_e32 v6, s40, v10                                 // 000000003750: 680C1428
	v_add_u32_e32 v7, s40, v11                                 // 000000003754: 680E1628
	buffer_load_dword v4, s[8:11], s59 offen lds               // 000000003758: E0511000 3B020004
	s_add_u32 m0, 0x880, m0                                    // 000000003760: 807C7CFF 00000880
	buffer_load_dword v5, s[8:11], s59 offen lds               // 000000003768: E0511000 3B020005
	s_add_u32 m0, 0x880, m0                                    // 000000003770: 807C7CFF 00000880
	buffer_load_dword v6, s[8:11], s59 offen lds               // 000000003778: E0511000 3B020006
	s_add_u32 m0, 0x880, m0                                    // 000000003780: 807C7CFF 00000880
	buffer_load_dword v7, s[8:11], s59 offen lds               // 000000003788: E0511000 3B020007
	s_add_u32 m0, 0x880, m0                                    // 000000003790: 807C7CFF 00000880
	s_mov_b32 s40, 0x4400                                      // 000000003798: BEA800FF 00004400
	s_add_u32 m0, s40, s58                                     // 0000000037A0: 807C3A28
	s_mul_i32 s40, 64, s62                                     // 0000000037A4: 92283EC0
	v_add_u32_e32 v4, s40, v8                                  // 0000000037A8: 68081028
	v_add_u32_e32 v5, s40, v9                                  // 0000000037AC: 680A1228
	v_add_u32_e32 v6, s40, v10                                 // 0000000037B0: 680C1428
	v_add_u32_e32 v7, s40, v11                                 // 0000000037B4: 680E1628
	buffer_load_dword v4, s[8:11], s59 offen lds               // 0000000037B8: E0511000 3B020004
	s_add_u32 m0, 0x880, m0                                    // 0000000037C0: 807C7CFF 00000880
	buffer_load_dword v5, s[8:11], s59 offen lds               // 0000000037C8: E0511000 3B020005
	s_add_u32 m0, 0x880, m0                                    // 0000000037D0: 807C7CFF 00000880
	buffer_load_dword v6, s[8:11], s59 offen lds               // 0000000037D8: E0511000 3B020006
	s_add_u32 m0, 0x880, m0                                    // 0000000037E0: 807C7CFF 00000880
	buffer_load_dword v7, s[8:11], s59 offen lds               // 0000000037E8: E0511000 3B020007
	s_add_u32 m0, 0x880, m0                                    // 0000000037F0: 807C7CFF 00000880
	s_mov_b32 s40, 0x6600                                      // 0000000037F8: BEA800FF 00006600
	s_add_u32 m0, s40, s58                                     // 000000003800: 807C3A28
	s_mul_i32 s40, 0x60, s62                                   // 000000003804: 92283EFF 00000060
	v_add_u32_e32 v4, s40, v8                                  // 00000000380C: 68081028
	v_add_u32_e32 v5, s40, v9                                  // 000000003810: 680A1228
	v_add_u32_e32 v6, s40, v10                                 // 000000003814: 680C1428
	v_add_u32_e32 v7, s40, v11                                 // 000000003818: 680E1628
	buffer_load_dword v4, s[8:11], s59 offen lds               // 00000000381C: E0511000 3B020004
	s_add_u32 m0, 0x880, m0                                    // 000000003824: 807C7CFF 00000880
	buffer_load_dword v5, s[8:11], s59 offen lds               // 00000000382C: E0511000 3B020005
	s_add_u32 m0, 0x880, m0                                    // 000000003834: 807C7CFF 00000880
	buffer_load_dword v6, s[8:11], s59 offen lds               // 00000000383C: E0511000 3B020006
	s_add_u32 m0, 0x880, m0                                    // 000000003844: 807C7CFF 00000880
	buffer_load_dword v7, s[8:11], s59 offen lds               // 00000000384C: E0511000 3B020007
	s_add_u32 m0, 0x880, m0                                    // 000000003854: 807C7CFF 00000880
	v_mov_b32_e32 v96, 0                                       // 00000000385C: 7EC00280
	v_mov_b32_e32 v97, 0                                       // 000000003860: 7EC20280
	v_mov_b32_e32 v98, 0                                       // 000000003864: 7EC40280
	v_mov_b32_e32 v99, 0                                       // 000000003868: 7EC60280
	v_mov_b32_e32 v100, 0                                      // 00000000386C: 7EC80280
	v_mov_b32_e32 v101, 0                                      // 000000003870: 7ECA0280
	v_mov_b32_e32 v102, 0                                      // 000000003874: 7ECC0280
	v_mov_b32_e32 v103, 0                                      // 000000003878: 7ECE0280
	v_mov_b32_e32 v104, 0                                      // 00000000387C: 7ED00280
	v_mov_b32_e32 v105, 0                                      // 000000003880: 7ED20280
	v_mov_b32_e32 v106, 0                                      // 000000003884: 7ED40280
	v_mov_b32_e32 v107, 0                                      // 000000003888: 7ED60280
	v_mov_b32_e32 v108, 0                                      // 00000000388C: 7ED80280
	v_mov_b32_e32 v109, 0                                      // 000000003890: 7EDA0280
	v_mov_b32_e32 v110, 0                                      // 000000003894: 7EDC0280
	v_mov_b32_e32 v111, 0                                      // 000000003898: 7EDE0280
	v_mov_b32_e32 v112, 0                                      // 00000000389C: 7EE00280
	v_mov_b32_e32 v113, 0                                      // 0000000038A0: 7EE20280
	v_mov_b32_e32 v114, 0                                      // 0000000038A4: 7EE40280
	v_mov_b32_e32 v115, 0                                      // 0000000038A8: 7EE60280
	v_mov_b32_e32 v116, 0                                      // 0000000038AC: 7EE80280
	v_mov_b32_e32 v117, 0                                      // 0000000038B0: 7EEA0280
	v_mov_b32_e32 v118, 0                                      // 0000000038B4: 7EEC0280
	v_mov_b32_e32 v119, 0                                      // 0000000038B8: 7EEE0280
	v_mov_b32_e32 v120, 0                                      // 0000000038BC: 7EF00280
	v_mov_b32_e32 v121, 0                                      // 0000000038C0: 7EF20280
	v_mov_b32_e32 v122, 0                                      // 0000000038C4: 7EF40280
	v_mov_b32_e32 v123, 0                                      // 0000000038C8: 7EF60280
	v_mov_b32_e32 v124, 0                                      // 0000000038CC: 7EF80280
	v_mov_b32_e32 v125, 0                                      // 0000000038D0: 7EFA0280
	v_mov_b32_e32 v126, 0                                      // 0000000038D4: 7EFC0280
	v_mov_b32_e32 v127, 0                                      // 0000000038D8: 7EFE0280
	v_lshrrev_b32_e32 v16, 5, v0                               // 0000000038DC: 20200085
	v_mul_i32_i24_e32 v17, 4, v16                              // 0000000038E0: 0C222084
	v_and_b32_e32 v16, 31, v0                                  // 0000000038E4: 2620009F
	v_mul_i32_i24_e32 v2, 0x44, v16                            // 0000000038E8: 0C0420FF 00000044
	v_add_u32_e32 v2, v2, v17                                  // 0000000038F0: 68042302
	v_lshlrev_b32_e32 v2, 2, v2                                // 0000000038F4: 24040482
	s_and_b32 s40, 3, s5                                       // 0000000038F8: 86280583
	s_mul_i32 s40, s40, 0x2200                                 // 0000000038FC: 9228FF28 00002200
	v_add_u32_e32 v2, s40, v2                                  // 000000003904: 68040428
	s_waitcnt vmcnt(0) expcnt(0) lgkmcnt(0)                    // 000000003908: BF8C0000
	s_barrier                                                  // 00000000390C: BF8A0000
	s_cmp_lt_i32 s5, 4                                         // 000000003910: BF048405
	s_cbranch_scc0 label_0196                                  // 000000003914: BF840010
	ds_read_b128 v[160:163], v2 offset:17408                   // 000000003918: D9FE4400 A0000002
	ds_read_b128 v[164:167], v2 offset:17440                   // 000000003920: D9FE4420 A4000002
	ds_read_b128 v[168:171], v2 offset:17472                   // 000000003928: D9FE4440 A8000002
	ds_read_b128 v[172:175], v2 offset:17504                   // 000000003930: D9FE4460 AC000002
	ds_read_b128 v[176:179], v2 offset:17536                   // 000000003938: D9FE4480 B0000002
	ds_read_b128 v[180:183], v2 offset:17568                   // 000000003940: D9FE44A0 B4000002
	ds_read_b128 v[184:187], v2 offset:17600                   // 000000003948: D9FE44C0 B8000002
	ds_read_b128 v[188:191], v2 offset:17632                   // 000000003950: D9FE44E0 BC000002

0000000000003958 <label_0196>:
	s_waitcnt vmcnt(0) expcnt(0) lgkmcnt(0)                    // 000000003958: BF8C0000
	s_barrier                                                  // 00000000395C: BF8A0000
	s_mov_b32 s40, 0                                           // 000000003960: BEA80080
	s_add_u32 m0, s40, s58                                     // 000000003964: 807C3A28
	s_mul_i32 s40, 0x80, s62                                   // 000000003968: 92283EFF 00000080
	v_add_u32_e32 v4, s40, v8                                  // 000000003970: 68081028
	v_add_u32_e32 v5, s40, v9                                  // 000000003974: 680A1228
	v_add_u32_e32 v6, s40, v10                                 // 000000003978: 680C1428
	v_add_u32_e32 v7, s40, v11                                 // 00000000397C: 680E1628
	buffer_load_dword v4, s[8:11], s59 offen lds               // 000000003980: E0511000 3B020004
	s_add_u32 m0, 0x880, m0                                    // 000000003988: 807C7CFF 00000880
	buffer_load_dword v5, s[8:11], s59 offen lds               // 000000003990: E0511000 3B020005
	s_add_u32 m0, 0x880, m0                                    // 000000003998: 807C7CFF 00000880
	buffer_load_dword v6, s[8:11], s59 offen lds               // 0000000039A0: E0511000 3B020006
	s_add_u32 m0, 0x880, m0                                    // 0000000039A8: 807C7CFF 00000880
	buffer_load_dword v7, s[8:11], s59 offen lds               // 0000000039B0: E0511000 3B020007
	s_add_u32 m0, 0x880, m0                                    // 0000000039B8: 807C7CFF 00000880
	s_mov_b32 s40, 0x2200                                      // 0000000039C0: BEA800FF 00002200
	s_add_u32 m0, s40, s58                                     // 0000000039C8: 807C3A28
	s_mul_i32 s40, 0xa0, s62                                   // 0000000039CC: 92283EFF 000000A0
	v_add_u32_e32 v4, s40, v8                                  // 0000000039D4: 68081028
	v_add_u32_e32 v5, s40, v9                                  // 0000000039D8: 680A1228
	v_add_u32_e32 v6, s40, v10                                 // 0000000039DC: 680C1428
	v_add_u32_e32 v7, s40, v11                                 // 0000000039E0: 680E1628
	buffer_load_dword v4, s[8:11], s59 offen lds               // 0000000039E4: E0511000 3B020004
	s_add_u32 m0, 0x880, m0                                    // 0000000039EC: 807C7CFF 00000880
	buffer_load_dword v5, s[8:11], s59 offen lds               // 0000000039F4: E0511000 3B020005
	s_add_u32 m0, 0x880, m0                                    // 0000000039FC: 807C7CFF 00000880
	buffer_load_dword v6, s[8:11], s59 offen lds               // 000000003A04: E0511000 3B020006
	s_add_u32 m0, 0x880, m0                                    // 000000003A0C: 807C7CFF 00000880
	buffer_load_dword v7, s[8:11], s59 offen lds               // 000000003A14: E0511000 3B020007
	s_add_u32 m0, 0x880, m0                                    // 000000003A1C: 807C7CFF 00000880
	s_mov_b32 s40, 0x4400                                      // 000000003A24: BEA800FF 00004400
	s_add_u32 m0, s40, s58                                     // 000000003A2C: 807C3A28
	s_mul_i32 s40, 0xc0, s62                                   // 000000003A30: 92283EFF 000000C0
	v_add_u32_e32 v4, s40, v8                                  // 000000003A38: 68081028
	v_add_u32_e32 v5, s40, v9                                  // 000000003A3C: 680A1228
	v_add_u32_e32 v6, s40, v10                                 // 000000003A40: 680C1428
	v_add_u32_e32 v7, s40, v11                                 // 000000003A44: 680E1628
	buffer_load_dword v4, s[8:11], s59 offen lds               // 000000003A48: E0511000 3B020004
	s_add_u32 m0, 0x880, m0                                    // 000000003A50: 807C7CFF 00000880
	buffer_load_dword v5, s[8:11], s59 offen lds               // 000000003A58: E0511000 3B020005
	s_add_u32 m0, 0x880, m0                                    // 000000003A60: 807C7CFF 00000880
	buffer_load_dword v6, s[8:11], s59 offen lds               // 000000003A68: E0511000 3B020006
	s_add_u32 m0, 0x880, m0                                    // 000000003A70: 807C7CFF 00000880
	buffer_load_dword v7, s[8:11], s59 offen lds               // 000000003A78: E0511000 3B020007
	s_add_u32 m0, 0x880, m0                                    // 000000003A80: 807C7CFF 00000880
	s_mov_b32 s40, 0x6600                                      // 000000003A88: BEA800FF 00006600
	s_add_u32 m0, s40, s58                                     // 000000003A90: 807C3A28
	s_mul_i32 s40, 0xe0, s62                                   // 000000003A94: 92283EFF 000000E0
	v_add_u32_e32 v4, s40, v8                                  // 000000003A9C: 68081028
	v_add_u32_e32 v5, s40, v9                                  // 000000003AA0: 680A1228
	v_add_u32_e32 v6, s40, v10                                 // 000000003AA4: 680C1428
	v_add_u32_e32 v7, s40, v11                                 // 000000003AA8: 680E1628
	buffer_load_dword v4, s[8:11], s59 offen lds               // 000000003AAC: E0511000 3B020004
	s_add_u32 m0, 0x880, m0                                    // 000000003AB4: 807C7CFF 00000880
	buffer_load_dword v5, s[8:11], s59 offen lds               // 000000003ABC: E0511000 3B020005
	s_add_u32 m0, 0x880, m0                                    // 000000003AC4: 807C7CFF 00000880
	buffer_load_dword v6, s[8:11], s59 offen lds               // 000000003ACC: E0511000 3B020006
	s_add_u32 m0, 0x880, m0                                    // 000000003AD4: 807C7CFF 00000880
	buffer_load_dword v7, s[8:11], s59 offen lds               // 000000003ADC: E0511000 3B020007
	s_add_u32 m0, 0x880, m0                                    // 000000003AE4: 807C7CFF 00000880
	v_mov_b32_e32 v128, 0                                      // 000000003AEC: 7F000280
	v_mov_b32_e32 v129, 0                                      // 000000003AF0: 7F020280
	v_mov_b32_e32 v130, 0                                      // 000000003AF4: 7F040280
	v_mov_b32_e32 v131, 0                                      // 000000003AF8: 7F060280
	v_mov_b32_e32 v132, 0                                      // 000000003AFC: 7F080280
	v_mov_b32_e32 v133, 0                                      // 000000003B00: 7F0A0280
	v_mov_b32_e32 v134, 0                                      // 000000003B04: 7F0C0280
	v_mov_b32_e32 v135, 0                                      // 000000003B08: 7F0E0280
	v_mov_b32_e32 v136, 0                                      // 000000003B0C: 7F100280
	v_mov_b32_e32 v137, 0                                      // 000000003B10: 7F120280
	v_mov_b32_e32 v138, 0                                      // 000000003B14: 7F140280
	v_mov_b32_e32 v139, 0                                      // 000000003B18: 7F160280
	v_mov_b32_e32 v140, 0                                      // 000000003B1C: 7F180280
	v_mov_b32_e32 v141, 0                                      // 000000003B20: 7F1A0280
	v_mov_b32_e32 v142, 0                                      // 000000003B24: 7F1C0280
	v_mov_b32_e32 v143, 0                                      // 000000003B28: 7F1E0280
	v_mov_b32_e32 v144, 0                                      // 000000003B2C: 7F200280
	v_mov_b32_e32 v145, 0                                      // 000000003B30: 7F220280
	v_mov_b32_e32 v146, 0                                      // 000000003B34: 7F240280
	v_mov_b32_e32 v147, 0                                      // 000000003B38: 7F260280
	v_mov_b32_e32 v148, 0                                      // 000000003B3C: 7F280280
	v_mov_b32_e32 v149, 0                                      // 000000003B40: 7F2A0280
	v_mov_b32_e32 v150, 0                                      // 000000003B44: 7F2C0280
	v_mov_b32_e32 v151, 0                                      // 000000003B48: 7F2E0280
	v_mov_b32_e32 v152, 0                                      // 000000003B4C: 7F300280
	v_mov_b32_e32 v153, 0                                      // 000000003B50: 7F320280
	v_mov_b32_e32 v154, 0                                      // 000000003B54: 7F340280
	v_mov_b32_e32 v155, 0                                      // 000000003B58: 7F360280
	v_mov_b32_e32 v156, 0                                      // 000000003B5C: 7F380280
	v_mov_b32_e32 v157, 0                                      // 000000003B60: 7F3A0280
	v_mov_b32_e32 v158, 0                                      // 000000003B64: 7F3C0280
	v_mov_b32_e32 v159, 0                                      // 000000003B68: 7F3E0280
	s_cmp_le_u32 s7, 0                                         // 000000003B6C: BF0B8007
	s_cbranch_scc1 label_0DCC                                  // 000000003B70: BF850BAF
	v_lshrrev_b32_e32 v16, 5, v0                               // 000000003B74: 20200085
	v_mul_i32_i24_e32 v17, 4, v16                              // 000000003B78: 0C222084
	v_and_b32_e32 v16, 31, v0                                  // 000000003B7C: 2620009F
	v_mul_i32_i24_e32 v12, 0x44, v16                           // 000000003B80: 0C1820FF 00000044
	v_add_u32_e32 v12, v12, v17                                // 000000003B88: 6818230C
	v_lshlrev_b32_e32 v12, 2, v12                              // 000000003B8C: 24181882
	v_lshrrev_b32_e32 v16, 5, v0                               // 000000003B90: 20200085
	v_mul_i32_i24_e32 v17, 0x80, v16                           // 000000003B94: 0C2220FF 00000080
	v_and_b32_e32 v16, 30, v0                                  // 000000003B9C: 2620009E
	v_add_u32_e32 v13, v17, v16                                // 000000003BA0: 681A2111
	v_and_b32_e32 v16, 1, v0                                   // 000000003BA4: 26200081
	v_mul_i32_i24_e32 v16, 0x410, v16                          // 000000003BA8: 0C2020FF 00000410
	v_add_u32_e32 v13, v16, v13                                // 000000003BB0: 681A1B10
	v_lshlrev_b32_e32 v13, 2, v13                              // 000000003BB4: 241A1A82
	v_lshlrev_b32_e32 v14, 1, v0                               // 000000003BB8: 241C0081
	s_mul_i32 s40, s5, 0x80                                    // 000000003BBC: 9228FF05 00000080
	v_add_u32_e32 v14, s40, v14                                // 000000003BC4: 681C1C28
	v_lshlrev_b32_e32 v14, 2, v14                              // 000000003BC8: 241C1C82
	v_lshlrev_b32_e32 v4, 2, v0                                // 000000003BCC: 24080082
	s_mul_i32 s40, s5, s61                                     // 000000003BD0: 92283D05
	v_add_u32_e32 v4, s40, v4                                  // 000000003BD4: 68080828
	s_mul_i32 s41, 8, s61                                      // 000000003BD8: 92293D88
	v_add_u32_e32 v5, s41, v4                                  // 000000003BDC: 680A0829
	v_add_u32_e32 v6, s41, v5                                  // 000000003BE0: 680C0A29
	v_add_u32_e32 v7, s41, v6                                  // 000000003BE4: 680E0C29
	s_mul_i32 s40, s5, 0x110                                   // 000000003BE8: 9228FF05 00000110
	s_add_u32 s68, 0, s40                                      // 000000003BF0: 80442880
	s_add_u32 s69, 0x2200, s68                                 // 000000003BF4: 804544FF 00002200
	v_lshlrev_b32_e32 v8, 2, v0                                // 000000003BFC: 24100082
	s_mul_i32 s40, s5, s80                                     // 000000003C00: 92285005
	s_mul_i32 s40, s40, 4                                      // 000000003C04: 92288428
	v_add_u32_e32 v8, s40, v8                                  // 000000003C08: 68101028
	v_add_u32_e32 v9, s80, v8                                  // 000000003C0C: 68121050
	v_add_u32_e32 v10, s80, v9                                 // 000000003C10: 68141250
	v_add_u32_e32 v11, s80, v10                                // 000000003C14: 68161450
	s_waitcnt vmcnt(0) expcnt(0) lgkmcnt(0)                    // 000000003C18: BF8C0000
	s_barrier                                                  // 000000003C1C: BF8A0000
	s_cmp_lt_i32 s5, 4                                         // 000000003C20: BF048405
	s_cbranch_scc1 label_025A                                  // 000000003C24: BF850010
	ds_read_b128 v[160:163], v2 offset:17408                   // 000000003C28: D9FE4400 A0000002
	ds_read_b128 v[164:167], v2 offset:17440                   // 000000003C30: D9FE4420 A4000002
	ds_read_b128 v[168:171], v2 offset:17472                   // 000000003C38: D9FE4440 A8000002
	ds_read_b128 v[172:175], v2 offset:17504                   // 000000003C40: D9FE4460 AC000002
	ds_read_b128 v[176:179], v2 offset:17536                   // 000000003C48: D9FE4480 B0000002
	ds_read_b128 v[180:183], v2 offset:17568                   // 000000003C50: D9FE44A0 B4000002
	ds_read_b128 v[184:187], v2 offset:17600                   // 000000003C58: D9FE44C0 B8000002
	ds_read_b128 v[188:191], v2 offset:17632                   // 000000003C60: D9FE44E0 BC000002

0000000000003c68 <label_025A>:
	s_waitcnt vmcnt(0) expcnt(0) lgkmcnt(0)                    // 000000003C68: BF8C0000
	s_barrier                                                  // 000000003C6C: BF8A0000
	s_mov_b32 m0, s68                                          // 000000003C70: BEFC0044
	buffer_load_dword v4, s[12:15], s60 offen lds              // 000000003C74: E0511000 3C030004
	s_add_u32 m0, 0x880, m0                                    // 000000003C7C: 807C7CFF 00000880
	buffer_load_dword v5, s[12:15], s60 offen lds              // 000000003C84: E0511000 3C030005
	s_add_u32 m0, 0x880, m0                                    // 000000003C8C: 807C7CFF 00000880
	buffer_load_dword v6, s[12:15], s60 offen lds              // 000000003C94: E0511000 3C030006
	s_add_u32 m0, 0x880, m0                                    // 000000003C9C: 807C7CFF 00000880
	buffer_load_dword v7, s[12:15], s60 offen lds              // 000000003CA4: E0511000 3C030007
	s_add_u32 m0, 0x880, m0                                    // 000000003CAC: 807C7CFF 00000880
	s_add_i32 s60, s43, s60                                    // 000000003CB4: 813C3C2B
	s_waitcnt vmcnt(0)                                         // 000000003CB8: BF8C0F70
	s_barrier                                                  // 000000003CBC: BF8A0000
	ds_read_b128 v[192:195], v12                               // 000000003CC0: D9FE0000 C000000C
	ds_read_b128 v[196:199], v12 offset:32                     // 000000003CC8: D9FE0020 C400000C
	ds_read_b128 v[200:203], v12 offset:64                     // 000000003CD0: D9FE0040 C800000C
	ds_read_b128 v[204:207], v12 offset:96                     // 000000003CD8: D9FE0060 CC00000C
	ds_read_b128 v[208:211], v12 offset:128                    // 000000003CE0: D9FE0080 D000000C
	ds_read_b128 v[212:215], v12 offset:160                    // 000000003CE8: D9FE00A0 D400000C
	ds_read_b128 v[216:219], v12 offset:192                    // 000000003CF0: D9FE00C0 D800000C
	ds_read_b128 v[220:223], v12 offset:224                    // 000000003CF8: D9FE00E0 DC00000C
	s_waitcnt lgkmcnt(0)                                       // 000000003D00: BF8CC07F
	s_barrier                                                  // 000000003D04: BF8A0000
	s_mov_b32 m0, s69                                          // 000000003D08: BEFC0045
	v_mfma_f32_32x32x8_bf16 v[64:79], v[192:193], v[160:161], 0// 000000003D0C: D3E00040 020341C0
	buffer_load_dword v4, s[12:15], s60 offen lds              // 000000003D14: E0511000 3C030004
	s_add_u32 m0, 0x880, m0                                    // 000000003D1C: 807C7CFF 00000880
	v_mfma_f32_32x32x8_bf16 v[64:79], v[194:195], v[162:163], v[64:79]// 000000003D24: D3E00040 050345C2
	v_mfma_f32_32x32x8_bf16 v[64:79], v[196:197], v[164:165], v[64:79]// 000000003D2C: D3E00040 050349C4
	buffer_load_dword v5, s[12:15], s60 offen lds              // 000000003D34: E0511000 3C030005
	s_add_u32 m0, 0x880, m0                                    // 000000003D3C: 807C7CFF 00000880
	v_mfma_f32_32x32x8_bf16 v[64:79], v[198:199], v[166:167], v[64:79]// 000000003D44: D3E00040 05034DC6
	v_mfma_f32_32x32x8_bf16 v[64:79], v[200:201], v[168:169], v[64:79]// 000000003D4C: D3E00040 050351C8
	buffer_load_dword v6, s[12:15], s60 offen lds              // 000000003D54: E0511000 3C030006
	s_add_u32 m0, 0x880, m0                                    // 000000003D5C: 807C7CFF 00000880
	v_mfma_f32_32x32x8_bf16 v[64:79], v[202:203], v[170:171], v[64:79]// 000000003D64: D3E00040 050355CA
	v_mfma_f32_32x32x8_bf16 v[64:79], v[204:205], v[172:173], v[64:79]// 000000003D6C: D3E00040 050359CC
	buffer_load_dword v7, s[12:15], s60 offen lds              // 000000003D74: E0511000 3C030007
	s_add_u32 m0, 0x880, m0                                    // 000000003D7C: 807C7CFF 00000880
	v_mfma_f32_32x32x8_bf16 v[64:79], v[206:207], v[174:175], v[64:79]// 000000003D84: D3E00040 05035DCE
	v_mfma_f32_32x32x8_bf16 v[64:79], v[208:209], v[176:177], v[64:79]// 000000003D8C: D3E00040 050361D0
	buffer_load_dword v224, v8, s[16:19], s35 offen            // 000000003D94: E0501000 2304E008
	v_mfma_f32_32x32x8_bf16 v[64:79], v[210:211], v[178:179], v[64:79]// 000000003D9C: D3E00040 050365D2
	v_mfma_f32_32x32x8_bf16 v[64:79], v[212:213], v[180:181], v[64:79]// 000000003DA4: D3E00040 050369D4
	buffer_load_dword v225, v9, s[16:19], s35 offen            // 000000003DAC: E0501000 2304E109
	v_mfma_f32_32x32x8_bf16 v[64:79], v[214:215], v[182:183], v[64:79]// 000000003DB4: D3E00040 05036DD6
	v_mfma_f32_32x32x8_bf16 v[64:79], v[216:217], v[184:185], v[64:79]// 000000003DBC: D3E00040 050371D8
	buffer_load_dword v226, v10, s[16:19], s35 offen           // 000000003DC4: E0501000 2304E20A
	v_mfma_f32_32x32x8_bf16 v[64:79], v[218:219], v[186:187], v[64:79]// 000000003DCC: D3E00040 050375DA
	v_mfma_f32_32x32x8_bf16 v[64:79], v[220:221], v[188:189], v[64:79]// 000000003DD4: D3E00040 050379DC
	buffer_load_dword v227, v11, s[16:19], s35 offen           // 000000003DDC: E0501000 2304E30B
	v_mfma_f32_32x32x8_bf16 v[64:79], v[222:223], v[190:191], v[64:79]// 000000003DE4: D3E00040 05037DDE
	s_add_i32 s60, s43, s60                                    // 000000003DEC: 813C3C2B
	s_add_i32 s35, s44, s35                                    // 000000003DF0: 8123232C
	s_cmp_lt_i32 s52, s54                                      // 000000003DF4: BF043634
	s_cbranch_scc1 label_0302                                  // 000000003DF8: BF850043
	s_sub_i32 s40, s7, s52                                     // 000000003DFC: 81A83407
	v_sub_i32 v16, s40, v30                                    // 000000003E00: D29D0010 00023C28
	v_cmp_lt_i32_e64 s[72:73], 0, v16                          // 000000003E08: D0C10048 00022080
	v_cmp_lt_i32_e64 s[74:75], 1, v16                          // 000000003E10: D0C1004A 00022081
	v_cndmask_b32_e64 v64, v31, v64, s[72:73]                  // 000000003E18: D1000040 0122811F
	v_cndmask_b32_e64 v65, v31, v65, s[74:75]                  // 000000003E20: D1000041 012A831F
	v_cmp_lt_i32_e64 s[72:73], 2, v16                          // 000000003E28: D0C10048 00022082
	v_cmp_lt_i32_e64 s[74:75], 3, v16                          // 000000003E30: D0C1004A 00022083
	v_cndmask_b32_e64 v66, v31, v66, s[72:73]                  // 000000003E38: D1000042 0122851F
	v_cndmask_b32_e64 v67, v31, v67, s[74:75]                  // 000000003E40: D1000043 012A871F
	v_cmp_lt_i32_e64 s[72:73], 8, v16                          // 000000003E48: D0C10048 00022088
	v_cmp_lt_i32_e64 s[74:75], 9, v16                          // 000000003E50: D0C1004A 00022089
	v_cndmask_b32_e64 v68, v31, v68, s[72:73]                  // 000000003E58: D1000044 0122891F
	v_cndmask_b32_e64 v69, v31, v69, s[74:75]                  // 000000003E60: D1000045 012A8B1F
	v_cmp_lt_i32_e64 s[72:73], 10, v16                         // 000000003E68: D0C10048 0002208A
	v_cmp_lt_i32_e64 s[74:75], 11, v16                         // 000000003E70: D0C1004A 0002208B
	v_cndmask_b32_e64 v70, v31, v70, s[72:73]                  // 000000003E78: D1000046 01228D1F
	v_cndmask_b32_e64 v71, v31, v71, s[74:75]                  // 000000003E80: D1000047 012A8F1F
	v_cmp_lt_i32_e64 s[72:73], 16, v16                         // 000000003E88: D0C10048 00022090
	v_cmp_lt_i32_e64 s[74:75], 17, v16                         // 000000003E90: D0C1004A 00022091
	v_cndmask_b32_e64 v72, v31, v72, s[72:73]                  // 000000003E98: D1000048 0122911F
	v_cndmask_b32_e64 v73, v31, v73, s[74:75]                  // 000000003EA0: D1000049 012A931F
	v_cmp_lt_i32_e64 s[72:73], 18, v16                         // 000000003EA8: D0C10048 00022092
	v_cmp_lt_i32_e64 s[74:75], 19, v16                         // 000000003EB0: D0C1004A 00022093
	v_cndmask_b32_e64 v74, v31, v74, s[72:73]                  // 000000003EB8: D100004A 0122951F
	v_cndmask_b32_e64 v75, v31, v75, s[74:75]                  // 000000003EC0: D100004B 012A971F
	v_cmp_lt_i32_e64 s[72:73], 24, v16                         // 000000003EC8: D0C10048 00022098
	v_cmp_lt_i32_e64 s[74:75], 25, v16                         // 000000003ED0: D0C1004A 00022099
	v_cndmask_b32_e64 v76, v31, v76, s[72:73]                  // 000000003ED8: D100004C 0122991F
	v_cndmask_b32_e64 v77, v31, v77, s[74:75]                  // 000000003EE0: D100004D 012A9B1F
	v_cmp_lt_i32_e64 s[72:73], 26, v16                         // 000000003EE8: D0C10048 0002209A
	v_cmp_lt_i32_e64 s[74:75], 27, v16                         // 000000003EF0: D0C1004A 0002209B
	v_cndmask_b32_e64 v78, v31, v78, s[72:73]                  // 000000003EF8: D100004E 01229D1F
	v_cndmask_b32_e64 v79, v31, v79, s[74:75]                  // 000000003F00: D100004F 012A9F1F

0000000000003f08 <label_0302>:
	s_nop 0                                                    // 000000003F08: BF800000
	v_max3_f32 v25, v64, v65, v28                              // 000000003F0C: D1D30019 04728340
	v_max3_f32 v25, v66, v67, v25                              // 000000003F14: D1D30019 04668742
	v_max3_f32 v25, v68, v69, v25                              // 000000003F1C: D1D30019 04668B44
	v_max3_f32 v25, v70, v71, v25                              // 000000003F24: D1D30019 04668F46
	v_max3_f32 v25, v72, v73, v25                              // 000000003F2C: D1D30019 04669348
	v_max3_f32 v25, v74, v75, v25                              // 000000003F34: D1D30019 0466974A
	v_max3_f32 v25, v76, v77, v25                              // 000000003F3C: D1D30019 04669B4C
	v_max3_f32 v25, v78, v79, v25                              // 000000003F44: D1D30019 04669F4E
	ds_permute_b32 v24, v32, v25                               // 000000003F4C: D87C0000 18001920
	v_nop                                                      // 000000003F54: 7E000000
	s_nop 0                                                    // 000000003F58: BF800000
	v_nop                                                      // 000000003F5C: 7E000000
	s_waitcnt lgkmcnt(0)                                       // 000000003F60: BF8CC07F
	v_max_f32_e32 v25, v24, v25                                // 000000003F64: 16323318
	v_mov_b32_e32 v20, 0                                       // 000000003F68: 7E280280
	v_mov_b32_e32 v28, v25                                     // 000000003F6C: 7E380319
	v_mul_f32_e32 v27, s56, v25                                // 000000003F70: 0A363238
	v_mul_f32_e32 v20, s56, v20                                // 000000003F74: 0A282838
	v_exp_f32_e32 v20, v20                                     // 000000003F78: 7E284114
	v_fma_f32 v64, v64, s56, -v27                              // 000000003F7C: D1CB0040 846C7140
	v_fma_f32 v65, v65, s56, -v27                              // 000000003F84: D1CB0041 846C7141
	v_fma_f32 v66, v66, s56, -v27                              // 000000003F8C: D1CB0042 846C7142
	v_fma_f32 v67, v67, s56, -v27                              // 000000003F94: D1CB0043 846C7143
	v_fma_f32 v68, v68, s56, -v27                              // 000000003F9C: D1CB0044 846C7144
	v_fma_f32 v69, v69, s56, -v27                              // 000000003FA4: D1CB0045 846C7145
	v_fma_f32 v70, v70, s56, -v27                              // 000000003FAC: D1CB0046 846C7146
	v_fma_f32 v71, v71, s56, -v27                              // 000000003FB4: D1CB0047 846C7147
	v_fma_f32 v72, v72, s56, -v27                              // 000000003FBC: D1CB0048 846C7148
	v_fma_f32 v73, v73, s56, -v27                              // 000000003FC4: D1CB0049 846C7149
	v_fma_f32 v74, v74, s56, -v27                              // 000000003FCC: D1CB004A 846C714A
	v_fma_f32 v75, v75, s56, -v27                              // 000000003FD4: D1CB004B 846C714B
	v_fma_f32 v76, v76, s56, -v27                              // 000000003FDC: D1CB004C 846C714C
	v_fma_f32 v77, v77, s56, -v27                              // 000000003FE4: D1CB004D 846C714D
	v_fma_f32 v78, v78, s56, -v27                              // 000000003FEC: D1CB004E 846C714E
	v_fma_f32 v79, v79, s56, -v27                              // 000000003FF4: D1CB004F 846C714F
	v_exp_f32_e32 v64, v64                                     // 000000003FFC: 7E804140
	v_exp_f32_e32 v65, v65                                     // 000000004000: 7E824141
	v_exp_f32_e32 v66, v66                                     // 000000004004: 7E844142
	v_exp_f32_e32 v67, v67                                     // 000000004008: 7E864143
	v_exp_f32_e32 v68, v68                                     // 00000000400C: 7E884144
	v_exp_f32_e32 v69, v69                                     // 000000004010: 7E8A4145
	v_exp_f32_e32 v70, v70                                     // 000000004014: 7E8C4146
	v_exp_f32_e32 v71, v71                                     // 000000004018: 7E8E4147
	v_exp_f32_e32 v72, v72                                     // 00000000401C: 7E904148
	v_exp_f32_e32 v73, v73                                     // 000000004020: 7E924149
	v_exp_f32_e32 v74, v74                                     // 000000004024: 7E94414A
	v_exp_f32_e32 v75, v75                                     // 000000004028: 7E96414B
	v_exp_f32_e32 v76, v76                                     // 00000000402C: 7E98414C
	v_exp_f32_e32 v77, v77                                     // 000000004030: 7E9A414D
	v_exp_f32_e32 v78, v78                                     // 000000004034: 7E9C414E
	s_addk_i32 s39, 0x20                                       // 000000004038: B7270020
	s_add_i32 s52, s52, s53                                    // 00000000403C: 81343534
	s_mov_b32 m0, s68                                          // 000000004040: BEFC0044
	buffer_load_dword v4, s[12:15], s60 offen lds              // 000000004044: E0511000 3C030004
	s_add_u32 m0, 0x880, m0                                    // 00000000404C: 807C7CFF 00000880
	buffer_load_dword v5, s[12:15], s60 offen lds              // 000000004054: E0511000 3C030005
	s_add_u32 m0, 0x880, m0                                    // 00000000405C: 807C7CFF 00000880
	buffer_load_dword v6, s[12:15], s60 offen lds              // 000000004064: E0511000 3C030006
	s_add_u32 m0, 0x880, m0                                    // 00000000406C: 807C7CFF 00000880
	buffer_load_dword v7, s[12:15], s60 offen lds              // 000000004074: E0511000 3C030007
	s_add_u32 m0, 0x880, m0                                    // 00000000407C: 807C7CFF 00000880
	s_add_i32 s60, s43, s60                                    // 000000004084: 813C3C2B
	s_waitcnt vmcnt(8)                                         // 000000004088: BF8C0F78
	s_barrier                                                  // 00000000408C: BF8A0000
	s_cmp_lt_i32 s39, s38                                      // 000000004090: BF042627
	s_cbranch_scc0 label_0BA0                                  // 000000004094: BF84083A
	s_cmp_lt_i32 s5, 4                                         // 000000004098: BF048405
	s_cbranch_scc0 label_0795                                  // 00000000409C: BF84042D
	buffer_load_dword v228, v8, s[16:19], s35 offen            // 0000000040A0: E0501000 2304E408
	buffer_load_dword v229, v9, s[16:19], s35 offen            // 0000000040A8: E0501000 2304E509
	buffer_load_dword v230, v10, s[16:19], s35 offen           // 0000000040B0: E0501000 2304E60A
	buffer_load_dword v231, v11, s[16:19], s35 offen           // 0000000040B8: E0501000 2304E70B
	s_add_i32 s35, s44, s35                                    // 0000000040C0: 8123232C
	ds_read_b128 v[192:195], v12 offset:8704                   // 0000000040C4: D9FE2200 C000000C
	ds_read_b128 v[196:199], v12 offset:8736                   // 0000000040CC: D9FE2220 C400000C
	ds_read_b128 v[200:203], v12 offset:8768                   // 0000000040D4: D9FE2240 C800000C
	ds_read_b128 v[204:207], v12 offset:8800                   // 0000000040DC: D9FE2260 CC00000C
	ds_read_b128 v[208:211], v12 offset:8832                   // 0000000040E4: D9FE2280 D000000C
	ds_read_b128 v[212:215], v12 offset:8864                   // 0000000040EC: D9FE22A0 D400000C
	ds_read_b128 v[216:219], v12 offset:8896                   // 0000000040F4: D9FE22C0 D800000C
	ds_read_b128 v[220:223], v12 offset:8928                   // 0000000040FC: D9FE22E0 DC00000C
	s_setprio 0                                                // 000000004104: BF8F0000
	s_barrier                                                  // 000000004108: BF8A0000

000000000000410c <label_0383>:
	s_waitcnt lgkmcnt(0)                                       // 00000000410C: BF8CC07F
	v_mfma_f32_32x32x8_bf16 v[80:95], v[192:193], v[160:161], 0// 000000004110: D3E00050 020341C0
	v_exp_f32_e32 v79, v79                                     // 000000004118: 7E9E414F
	v_mul_f32_e32 v22, v20, v22                                // 00000000411C: 0A2C2D14
	v_add_f32_e32 v38, v65, v64                                // 000000004120: 024C8141
	v_add_f32_e32 v38, v66, v38                                // 000000004124: 024C4D42
	v_mfma_f32_32x32x8_bf16 v[80:95], v[194:195], v[162:163], v[80:95]// 000000004128: D3E00050 054345C2
	v_add_f32_e32 v38, v67, v38                                // 000000004130: 024C4D43
	v_add_f32_e32 v38, v68, v38                                // 000000004134: 024C4D44
	v_add_f32_e32 v38, v69, v38                                // 000000004138: 024C4D45
	v_add_f32_e32 v38, v70, v38                                // 00000000413C: 024C4D46
	v_add_f32_e32 v38, v71, v38                                // 000000004140: 024C4D47
	v_add_f32_e32 v38, v72, v38                                // 000000004144: 024C4D48
	v_add_f32_e32 v38, v73, v38                                // 000000004148: 024C4D49
	v_mfma_f32_32x32x8_bf16 v[80:95], v[196:197], v[164:165], v[80:95]// 00000000414C: D3E00050 054349C4
	v_add_f32_e32 v38, v74, v38                                // 000000004154: 024C4D4A
	v_add_f32_e32 v38, v75, v38                                // 000000004158: 024C4D4B
	v_add_f32_e32 v38, v76, v38                                // 00000000415C: 024C4D4C
	v_add_f32_e32 v38, v77, v38                                // 000000004160: 024C4D4D
	v_add_f32_e32 v38, v78, v38                                // 000000004164: 024C4D4E
	v_add_f32_e32 v38, v79, v38                                // 000000004168: 024C4D4F
	v_add_f32_e32 v22, v38, v22                                // 00000000416C: 022C2D26
	v_mfma_f32_32x32x8_bf16 v[80:95], v[198:199], v[166:167], v[80:95]// 000000004170: D3E00050 05434DC6
	v_mul_f32_e32 v96, v20, v96                                // 000000004178: 0AC0C114
	v_mul_f32_e32 v97, v20, v97                                // 00000000417C: 0AC2C314
	v_mul_f32_e32 v98, v20, v98                                // 000000004180: 0AC4C514
	v_mul_f32_e32 v99, v20, v99                                // 000000004184: 0AC6C714
	v_mul_f32_e32 v100, v20, v100                              // 000000004188: 0AC8C914
	v_mul_f32_e32 v101, v20, v101                              // 00000000418C: 0ACACB14
	v_mul_f32_e32 v102, v20, v102                              // 000000004190: 0ACCCD14
	v_mfma_f32_32x32x8_bf16 v[80:95], v[200:201], v[168:169], v[80:95]// 000000004194: D3E00050 054351C8
	v_mul_f32_e32 v103, v20, v103                              // 00000000419C: 0ACECF14
	v_mul_f32_e32 v104, v20, v104                              // 0000000041A0: 0AD0D114
	v_mul_f32_e32 v105, v20, v105                              // 0000000041A4: 0AD2D314
	v_mul_f32_e32 v106, v20, v106                              // 0000000041A8: 0AD4D514
	v_mul_f32_e32 v107, v20, v107                              // 0000000041AC: 0AD6D714
	v_mul_f32_e32 v108, v20, v108                              // 0000000041B0: 0AD8D914
	v_mul_f32_e32 v109, v20, v109                              // 0000000041B4: 0ADADB14
	v_mfma_f32_32x32x8_bf16 v[80:95], v[202:203], v[170:171], v[80:95]// 0000000041B8: D3E00050 054355CA
	v_mul_f32_e32 v110, v20, v110                              // 0000000041C0: 0ADCDD14
	v_mul_f32_e32 v111, v20, v111                              // 0000000041C4: 0ADEDF14
	v_mul_f32_e32 v112, v20, v112                              // 0000000041C8: 0AE0E114
	v_mul_f32_e32 v113, v20, v113                              // 0000000041CC: 0AE2E314
	v_mul_f32_e32 v114, v20, v114                              // 0000000041D0: 0AE4E514
	v_mul_f32_e32 v115, v20, v115                              // 0000000041D4: 0AE6E714
	v_mul_f32_e32 v116, v20, v116                              // 0000000041D8: 0AE8E914
	v_mfma_f32_32x32x8_bf16 v[80:95], v[204:205], v[172:173], v[80:95]// 0000000041DC: D3E00050 054359CC
	v_mul_f32_e32 v117, v20, v117                              // 0000000041E4: 0AEAEB14
	v_mul_f32_e32 v118, v20, v118                              // 0000000041E8: 0AECED14
	v_mul_f32_e32 v119, v20, v119                              // 0000000041EC: 0AEEEF14
	v_mul_f32_e32 v120, v20, v120                              // 0000000041F0: 0AF0F114
	v_mul_f32_e32 v121, v20, v121                              // 0000000041F4: 0AF2F314
	v_mul_f32_e32 v122, v20, v122                              // 0000000041F8: 0AF4F514
	v_mul_f32_e32 v123, v20, v123                              // 0000000041FC: 0AF6F714
	v_mfma_f32_32x32x8_bf16 v[80:95], v[206:207], v[174:175], v[80:95]// 000000004200: D3E00050 05435DCE
	v_mul_f32_e32 v124, v20, v124                              // 000000004208: 0AF8F914
	v_mul_f32_e32 v125, v20, v125                              // 00000000420C: 0AFAFB14
	v_mul_f32_e32 v126, v20, v126                              // 000000004210: 0AFCFD14
	v_mul_f32_e32 v127, v20, v127                              // 000000004214: 0AFEFF14
	v_mul_f32_e32 v128, v20, v128                              // 000000004218: 0B010114
	v_mul_f32_e32 v129, v20, v129                              // 00000000421C: 0B030314
	v_mul_f32_e32 v130, v20, v130                              // 000000004220: 0B050514
	v_mfma_f32_32x32x8_bf16 v[80:95], v[208:209], v[176:177], v[80:95]// 000000004224: D3E00050 054361D0
	v_mul_f32_e32 v131, v20, v131                              // 00000000422C: 0B070714
	v_mul_f32_e32 v132, v20, v132                              // 000000004230: 0B090914
	v_mul_f32_e32 v133, v20, v133                              // 000000004234: 0B0B0B14
	v_mul_f32_e32 v134, v20, v134                              // 000000004238: 0B0D0D14
	v_mul_f32_e32 v135, v20, v135                              // 00000000423C: 0B0F0F14
	v_mul_f32_e32 v136, v20, v136                              // 000000004240: 0B111114
	v_mul_f32_e32 v137, v20, v137                              // 000000004244: 0B131314
	v_mfma_f32_32x32x8_bf16 v[80:95], v[210:211], v[178:179], v[80:95]// 000000004248: D3E00050 054365D2
	v_mul_f32_e32 v138, v20, v138                              // 000000004250: 0B151514
	v_mul_f32_e32 v139, v20, v139                              // 000000004254: 0B171714
	v_mul_f32_e32 v140, v20, v140                              // 000000004258: 0B191914
	v_mul_f32_e32 v141, v20, v141                              // 00000000425C: 0B1B1B14
	v_mul_f32_e32 v142, v20, v142                              // 000000004260: 0B1D1D14
	v_mul_f32_e32 v143, v20, v143                              // 000000004264: 0B1F1F14
	v_mul_f32_e32 v144, v20, v144                              // 000000004268: 0B212114
	v_mfma_f32_32x32x8_bf16 v[80:95], v[212:213], v[180:181], v[80:95]// 00000000426C: D3E00050 054369D4
	v_mul_f32_e32 v145, v20, v145                              // 000000004274: 0B232314
	v_mul_f32_e32 v146, v20, v146                              // 000000004278: 0B252514
	v_mul_f32_e32 v147, v20, v147                              // 00000000427C: 0B272714
	v_mul_f32_e32 v148, v20, v148                              // 000000004280: 0B292914
	v_mul_f32_e32 v149, v20, v149                              // 000000004284: 0B2B2B14
	v_mul_f32_e32 v150, v20, v150                              // 000000004288: 0B2D2D14
	v_mul_f32_e32 v151, v20, v151                              // 00000000428C: 0B2F2F14
	v_mfma_f32_32x32x8_bf16 v[80:95], v[214:215], v[182:183], v[80:95]// 000000004290: D3E00050 05436DD6
	s_waitcnt vmcnt(8)                                         // 000000004298: BF8C0F78
	s_barrier                                                  // 00000000429C: BF8A0000
	v_mfma_f32_32x32x8_bf16 v[80:95], v[216:217], v[184:185], v[80:95]// 0000000042A0: D3E00050 054371D8
	v_mul_f32_e32 v152, v20, v152                              // 0000000042A8: 0B313114
	v_mul_f32_e32 v153, v20, v153                              // 0000000042AC: 0B333314
	v_mul_f32_e32 v154, v20, v154                              // 0000000042B0: 0B353514
	v_mul_f32_e32 v155, v20, v155                              // 0000000042B4: 0B373714
	v_mul_f32_e32 v156, v20, v156                              // 0000000042B8: 0B393914
	v_mul_f32_e32 v157, v20, v157                              // 0000000042BC: 0B3B3B14
	v_mul_f32_e32 v158, v20, v158                              // 0000000042C0: 0B3D3D14
	v_mfma_f32_32x32x8_bf16 v[80:95], v[218:219], v[186:187], v[80:95]// 0000000042C4: D3E00050 054375DA
	v_mul_f32_e32 v159, v20, v159                              // 0000000042CC: 0B3F3F14
	v_cmp_u_f32_e64 s[70:71], v64, v64                         // 0000000042D0: D0480046 00028140
	v_add3_u32 v40, v64, v43, 1                                // 0000000042D8: D1FF0028 02065740
	v_cndmask_b32_e64 v16, v40, v42, s[70:71]                  // 0000000042E0: D1000010 011A5528
	v_cmp_u_f32_e64 s[70:71], v65, v65                         // 0000000042E8: D0480046 00028341
	v_add3_u32 v40, v65, v43, 1                                // 0000000042F0: D1FF0028 02065741
	v_cndmask_b32_e64 v17, v40, v42, s[70:71]                  // 0000000042F8: D1000011 011A5528
	v_perm_b32 v64, v17, v16, s49                              // 000000004300: D1ED0040 00C62111
	v_cmp_u_f32_e64 s[70:71], v66, v66                         // 000000004308: D0480046 00028542
	v_add3_u32 v40, v66, v43, 1                                // 000000004310: D1FF0028 02065742
	v_cndmask_b32_e64 v16, v40, v42, s[70:71]                  // 000000004318: D1000010 011A5528
	v_cmp_u_f32_e64 s[70:71], v67, v67                         // 000000004320: D0480046 00028743
	v_add3_u32 v40, v67, v43, 1                                // 000000004328: D1FF0028 02065743
	v_cndmask_b32_e64 v17, v40, v42, s[70:71]                  // 000000004330: D1000011 011A5528
	v_perm_b32 v65, v17, v16, s49                              // 000000004338: D1ED0041 00C62111
	v_cmp_u_f32_e64 s[70:71], v68, v68                         // 000000004340: D0480046 00028944
	v_add3_u32 v40, v68, v43, 1                                // 000000004348: D1FF0028 02065744
	v_cndmask_b32_e64 v16, v40, v42, s[70:71]                  // 000000004350: D1000010 011A5528
	v_cmp_u_f32_e64 s[70:71], v69, v69                         // 000000004358: D0480046 00028B45
	v_add3_u32 v40, v69, v43, 1                                // 000000004360: D1FF0028 02065745
	v_cndmask_b32_e64 v17, v40, v42, s[70:71]                  // 000000004368: D1000011 011A5528
	v_perm_b32 v66, v17, v16, s49                              // 000000004370: D1ED0042 00C62111
	v_mfma_f32_32x32x8_bf16 v[80:95], v[220:221], v[188:189], v[80:95]// 000000004378: D3E00050 054379DC
	v_cmp_u_f32_e64 s[70:71], v70, v70                         // 000000004380: D0480046 00028D46
	v_add3_u32 v40, v70, v43, 1                                // 000000004388: D1FF0028 02065746
	v_cndmask_b32_e64 v16, v40, v42, s[70:71]                  // 000000004390: D1000010 011A5528
	v_cmp_u_f32_e64 s[70:71], v71, v71                         // 000000004398: D0480046 00028F47
	v_add3_u32 v40, v71, v43, 1                                // 0000000043A0: D1FF0028 02065747
	v_cndmask_b32_e64 v17, v40, v42, s[70:71]                  // 0000000043A8: D1000011 011A5528
	v_perm_b32 v67, v17, v16, s49                              // 0000000043B0: D1ED0043 00C62111
	v_cmp_u_f32_e64 s[70:71], v72, v72                         // 0000000043B8: D0480046 00029148
	v_add3_u32 v40, v72, v43, 1                                // 0000000043C0: D1FF0028 02065748
	v_cndmask_b32_e64 v16, v40, v42, s[70:71]                  // 0000000043C8: D1000010 011A5528
	v_cmp_u_f32_e64 s[70:71], v73, v73                         // 0000000043D0: D0480046 00029349
	v_add3_u32 v40, v73, v43, 1                                // 0000000043D8: D1FF0028 02065749
	v_cndmask_b32_e64 v17, v40, v42, s[70:71]                  // 0000000043E0: D1000011 011A5528
	v_perm_b32 v68, v17, v16, s49                              // 0000000043E8: D1ED0044 00C62111
	v_cmp_u_f32_e64 s[70:71], v74, v74                         // 0000000043F0: D0480046 0002954A
	v_add3_u32 v40, v74, v43, 1                                // 0000000043F8: D1FF0028 0206574A
	v_cndmask_b32_e64 v16, v40, v42, s[70:71]                  // 000000004400: D1000010 011A5528
	v_cmp_u_f32_e64 s[70:71], v75, v75                         // 000000004408: D0480046 0002974B
	v_add3_u32 v40, v75, v43, 1                                // 000000004410: D1FF0028 0206574B
	v_cndmask_b32_e64 v17, v40, v42, s[70:71]                  // 000000004418: D1000011 011A5528
	v_perm_b32 v69, v17, v16, s49                              // 000000004420: D1ED0045 00C62111
	v_cmp_u_f32_e64 s[70:71], v76, v76                         // 000000004428: D0480046 0002994C
	v_add3_u32 v40, v76, v43, 1                                // 000000004430: D1FF0028 0206574C
	v_cndmask_b32_e64 v16, v40, v42, s[70:71]                  // 000000004438: D1000010 011A5528
	v_cmp_u_f32_e64 s[70:71], v77, v77                         // 000000004440: D0480046 00029B4D
	v_add3_u32 v40, v77, v43, 1                                // 000000004448: D1FF0028 0206574D
	v_cndmask_b32_e64 v17, v40, v42, s[70:71]                  // 000000004450: D1000011 011A5528
	v_perm_b32 v70, v17, v16, s49                              // 000000004458: D1ED0046 00C62111
	v_cmp_u_f32_e64 s[70:71], v78, v78                         // 000000004460: D0480046 00029D4E
	v_add3_u32 v40, v78, v43, 1                                // 000000004468: D1FF0028 0206574E
	v_cndmask_b32_e64 v16, v40, v42, s[70:71]                  // 000000004470: D1000010 011A5528
	v_cmp_u_f32_e64 s[70:71], v79, v79                         // 000000004478: D0480046 00029F4F
	v_add3_u32 v40, v79, v43, 1                                // 000000004480: D1FF0028 0206574F
	v_cndmask_b32_e64 v17, v40, v42, s[70:71]                  // 000000004488: D1000011 011A5528
	v_perm_b32 v71, v17, v16, s49                              // 000000004490: D1ED0047 00C62111
	v_mfma_f32_32x32x8_bf16 v[80:95], v[222:223], v[190:191], v[80:95]// 000000004498: D3E00050 05437DDE
	v_perm_b32 v232, v225, v224, s50                           // 0000000044A0: D1ED00E8 00CBC1E1
	v_perm_b32 v234, v225, v224, s49                           // 0000000044A8: D1ED00EA 00C7C1E1
	v_perm_b32 v233, v227, v226, s50                           // 0000000044B0: D1ED00E9 00CBC5E3
	v_perm_b32 v235, v227, v226, s49                           // 0000000044B8: D1ED00EB 00C7C5E3
	s_barrier                                                  // 0000000044C0: BF8A0000
	ds_write_b64 v14, v[232:233] offset:17408                  // 0000000044C4: D89A4400 0000E80E
	ds_write_b64 v14, v[234:235] offset:21568                  // 0000000044CC: D89A5440 0000EA0E
	s_waitcnt lgkmcnt(0)                                       // 0000000044D4: BF8CC07F
	s_barrier                                                  // 0000000044D8: BF8A0000
	s_mov_b32 m0, s69                                          // 0000000044DC: BEFC0045
	ds_read_b64 v[192:193], v13 offset:17408                   // 0000000044E0: D8EC4400 C000000D
	ds_read_b64 v[194:195], v13 offset:18432                   // 0000000044E8: D8EC4800 C200000D
	ds_read_b64 v[196:197], v13 offset:19456                   // 0000000044F0: D8EC4C00 C400000D
	ds_read_b64 v[198:199], v13 offset:20480                   // 0000000044F8: D8EC5000 C600000D
	buffer_load_dword v4, s[12:15], s60 offen lds              // 000000004500: E0511000 3C030004
	s_add_u32 m0, 0x880, m0                                    // 000000004508: 807C7CFF 00000880
	ds_read_b64 v[200:201], v13 offset:17536                   // 000000004510: D8EC4480 C800000D
	ds_read_b64 v[202:203], v13 offset:18560                   // 000000004518: D8EC4880 CA00000D
	ds_read_b64 v[204:205], v13 offset:19584                   // 000000004520: D8EC4C80 CC00000D
	ds_read_b64 v[206:207], v13 offset:20608                   // 000000004528: D8EC5080 CE00000D
	buffer_load_dword v5, s[12:15], s60 offen lds              // 000000004530: E0511000 3C030005
	s_add_u32 m0, 0x880, m0                                    // 000000004538: 807C7CFF 00000880
	ds_read_b64 v[208:209], v13 offset:17664                   // 000000004540: D8EC4500 D000000D
	ds_read_b64 v[210:211], v13 offset:18688                   // 000000004548: D8EC4900 D200000D
	ds_read_b64 v[212:213], v13 offset:19712                   // 000000004550: D8EC4D00 D400000D
	ds_read_b64 v[214:215], v13 offset:20736                   // 000000004558: D8EC5100 D600000D
	buffer_load_dword v6, s[12:15], s60 offen lds              // 000000004560: E0511000 3C030006
	s_add_u32 m0, 0x880, m0                                    // 000000004568: 807C7CFF 00000880
	ds_read_b64 v[216:217], v13 offset:17792                   // 000000004570: D8EC4580 D800000D
	ds_read_b64 v[218:219], v13 offset:18816                   // 000000004578: D8EC4980 DA00000D
	ds_read_b64 v[220:221], v13 offset:19840                   // 000000004580: D8EC4D80 DC00000D
	ds_read_b64 v[222:223], v13 offset:20864                   // 000000004588: D8EC5180 DE00000D
	buffer_load_dword v7, s[12:15], s60 offen lds              // 000000004590: E0511000 3C030007
	s_add_u32 m0, 0x880, m0                                    // 000000004598: 807C7CFF 00000880
	s_add_i32 s60, s43, s60                                    // 0000000045A0: 813C3C2B
	s_add_u32 s40, 0x80, s39                                   // 0000000045A4: 802827FF 00000080
	s_cmp_lt_u32 s40, s38                                      // 0000000045AC: BF0A2628
	s_cselect_b32 s43, s43, 0                                  // 0000000045B0: 852B802B
	s_nop 0                                                    // 0000000045B4: BF800000
	s_cmp_lt_i32 s52, s54                                      // 0000000045B8: BF043634
	s_cbranch_scc1 label_04F3                                  // 0000000045BC: BF850043
	s_sub_i32 s40, s7, s52                                     // 0000000045C0: 81A83407
	v_sub_i32 v16, s40, v30                                    // 0000000045C4: D29D0010 00023C28
	v_cmp_lt_i32_e64 s[72:73], 0, v16                          // 0000000045CC: D0C10048 00022080
	v_cmp_lt_i32_e64 s[74:75], 1, v16                          // 0000000045D4: D0C1004A 00022081
	v_cndmask_b32_e64 v80, v31, v80, s[72:73]                  // 0000000045DC: D1000050 0122A11F
	v_cndmask_b32_e64 v81, v31, v81, s[74:75]                  // 0000000045E4: D1000051 012AA31F
	v_cmp_lt_i32_e64 s[72:73], 2, v16                          // 0000000045EC: D0C10048 00022082
	v_cmp_lt_i32_e64 s[74:75], 3, v16                          // 0000000045F4: D0C1004A 00022083
	v_cndmask_b32_e64 v82, v31, v82, s[72:73]                  // 0000000045FC: D1000052 0122A51F
	v_cndmask_b32_e64 v83, v31, v83, s[74:75]                  // 000000004604: D1000053 012AA71F
	v_cmp_lt_i32_e64 s[72:73], 8, v16                          // 00000000460C: D0C10048 00022088
	v_cmp_lt_i32_e64 s[74:75], 9, v16                          // 000000004614: D0C1004A 00022089
	v_cndmask_b32_e64 v84, v31, v84, s[72:73]                  // 00000000461C: D1000054 0122A91F
	v_cndmask_b32_e64 v85, v31, v85, s[74:75]                  // 000000004624: D1000055 012AAB1F
	v_cmp_lt_i32_e64 s[72:73], 10, v16                         // 00000000462C: D0C10048 0002208A
	v_cmp_lt_i32_e64 s[74:75], 11, v16                         // 000000004634: D0C1004A 0002208B
	v_cndmask_b32_e64 v86, v31, v86, s[72:73]                  // 00000000463C: D1000056 0122AD1F
	v_cndmask_b32_e64 v87, v31, v87, s[74:75]                  // 000000004644: D1000057 012AAF1F
	v_cmp_lt_i32_e64 s[72:73], 16, v16                         // 00000000464C: D0C10048 00022090
	v_cmp_lt_i32_e64 s[74:75], 17, v16                         // 000000004654: D0C1004A 00022091
	v_cndmask_b32_e64 v88, v31, v88, s[72:73]                  // 00000000465C: D1000058 0122B11F
	v_cndmask_b32_e64 v89, v31, v89, s[74:75]                  // 000000004664: D1000059 012AB31F
	v_cmp_lt_i32_e64 s[72:73], 18, v16                         // 00000000466C: D0C10048 00022092
	v_cmp_lt_i32_e64 s[74:75], 19, v16                         // 000000004674: D0C1004A 00022093
	v_cndmask_b32_e64 v90, v31, v90, s[72:73]                  // 00000000467C: D100005A 0122B51F
	v_cndmask_b32_e64 v91, v31, v91, s[74:75]                  // 000000004684: D100005B 012AB71F
	v_cmp_lt_i32_e64 s[72:73], 24, v16                         // 00000000468C: D0C10048 00022098
	v_cmp_lt_i32_e64 s[74:75], 25, v16                         // 000000004694: D0C1004A 00022099
	v_cndmask_b32_e64 v92, v31, v92, s[72:73]                  // 00000000469C: D100005C 0122B91F
	v_cndmask_b32_e64 v93, v31, v93, s[74:75]                  // 0000000046A4: D100005D 012ABB1F
	v_cmp_lt_i32_e64 s[72:73], 26, v16                         // 0000000046AC: D0C10048 0002209A
	v_cmp_lt_i32_e64 s[74:75], 27, v16                         // 0000000046B4: D0C1004A 0002209B
	v_cndmask_b32_e64 v94, v31, v94, s[72:73]                  // 0000000046BC: D100005E 0122BD1F
	v_cndmask_b32_e64 v95, v31, v95, s[74:75]                  // 0000000046C4: D100005F 012ABF1F

00000000000046cc <label_04F3>:
	s_nop 0                                                    // 0000000046CC: BF800000
	s_waitcnt lgkmcnt(0)                                       // 0000000046D0: BF8CC07F
	s_barrier                                                  // 0000000046D4: BF8A0000
	v_mfma_f32_32x32x8_bf16 v[96:111], v[192:193], v[64:65], v[96:111]// 0000000046D8: D3E00060 058281C0
	v_max3_f32 v25, v80, v81, v28                              // 0000000046E0: D1D30019 0472A350
	v_max3_f32 v25, v82, v83, v25                              // 0000000046E8: D1D30019 0466A752
	v_max3_f32 v25, v84, v85, v25                              // 0000000046F0: D1D30019 0466AB54
	v_max3_f32 v25, v86, v87, v25                              // 0000000046F8: D1D30019 0466AF56
	v_max3_f32 v25, v88, v89, v25                              // 000000004700: D1D30019 0466B358
	v_max3_f32 v25, v90, v91, v25                              // 000000004708: D1D30019 0466B75A
	v_max3_f32 v25, v92, v93, v25                              // 000000004710: D1D30019 0466BB5C
	v_mfma_f32_32x32x8_bf16 v[96:111], v[194:195], v[66:67], v[96:111]// 000000004718: D3E00060 058285C2
	v_max3_f32 v25, v94, v95, v25                              // 000000004720: D1D30019 0466BF5E
	ds_permute_b32 v24, v32, v25                               // 000000004728: D87C0000 18001920
	v_mfma_f32_32x32x8_bf16 v[96:111], v[196:197], v[68:69], v[96:111]// 000000004730: D3E00060 058289C4
	v_nop                                                      // 000000004738: 7E000000
	s_nop 0                                                    // 00000000473C: BF800000
	v_mfma_f32_32x32x8_bf16 v[96:111], v[198:199], v[70:71], v[96:111]// 000000004740: D3E00060 05828DC6
	v_nop                                                      // 000000004748: 7E000000
	v_mfma_f32_32x32x8_bf16 v[112:127], v[200:201], v[64:65], v[112:127]// 00000000474C: D3E00070 05C281C8
	s_waitcnt lgkmcnt(0)                                       // 000000004754: BF8CC07F
	v_max_f32_e32 v25, v24, v25                                // 000000004758: 16323318
	v_sub_f32_e32 v20, v28, v25                                // 00000000475C: 0428331C
	v_mov_b32_e32 v28, v25                                     // 000000004760: 7E380319
	v_mul_f32_e32 v27, s56, v25                                // 000000004764: 0A363238
	v_mul_f32_e32 v20, s56, v20                                // 000000004768: 0A282838
	v_mfma_f32_32x32x8_bf16 v[112:127], v[202:203], v[66:67], v[112:127]// 00000000476C: D3E00070 05C285CA
	v_exp_f32_e32 v20, v20                                     // 000000004774: 7E284114
	v_fma_f32 v80, v80, s56, -v27                              // 000000004778: D1CB0050 846C7150
	v_fma_f32 v81, v81, s56, -v27                              // 000000004780: D1CB0051 846C7151
	v_fma_f32 v82, v82, s56, -v27                              // 000000004788: D1CB0052 846C7152
	v_mfma_f32_32x32x8_bf16 v[112:127], v[204:205], v[68:69], v[112:127]// 000000004790: D3E00070 05C289CC
	v_fma_f32 v83, v83, s56, -v27                              // 000000004798: D1CB0053 846C7153
	v_fma_f32 v84, v84, s56, -v27                              // 0000000047A0: D1CB0054 846C7154
	v_fma_f32 v85, v85, s56, -v27                              // 0000000047A8: D1CB0055 846C7155
	v_fma_f32 v86, v86, s56, -v27                              // 0000000047B0: D1CB0056 846C7156
	v_fma_f32 v87, v87, s56, -v27                              // 0000000047B8: D1CB0057 846C7157
	v_fma_f32 v88, v88, s56, -v27                              // 0000000047C0: D1CB0058 846C7158
	v_fma_f32 v89, v89, s56, -v27                              // 0000000047C8: D1CB0059 846C7159
	v_mfma_f32_32x32x8_bf16 v[112:127], v[206:207], v[70:71], v[112:127]// 0000000047D0: D3E00070 05C28DCE
	v_fma_f32 v90, v90, s56, -v27                              // 0000000047D8: D1CB005A 846C715A
	v_fma_f32 v91, v91, s56, -v27                              // 0000000047E0: D1CB005B 846C715B
	v_fma_f32 v92, v92, s56, -v27                              // 0000000047E8: D1CB005C 846C715C
	v_fma_f32 v93, v93, s56, -v27                              // 0000000047F0: D1CB005D 846C715D
	v_fma_f32 v94, v94, s56, -v27                              // 0000000047F8: D1CB005E 846C715E
	v_fma_f32 v95, v95, s56, -v27                              // 000000004800: D1CB005F 846C715F
	v_exp_f32_e32 v80, v80                                     // 000000004808: 7EA04150
	v_mfma_f32_32x32x8_bf16 v[128:143], v[208:209], v[64:65], v[128:143]// 00000000480C: D3E00080 060281D0
	v_exp_f32_e32 v81, v81                                     // 000000004814: 7EA24151
	v_exp_f32_e32 v82, v82                                     // 000000004818: 7EA44152
	v_mfma_f32_32x32x8_bf16 v[128:143], v[210:211], v[66:67], v[128:143]// 00000000481C: D3E00080 060285D2
	v_exp_f32_e32 v83, v83                                     // 000000004824: 7EA64153
	v_exp_f32_e32 v84, v84                                     // 000000004828: 7EA84154
	v_mfma_f32_32x32x8_bf16 v[128:143], v[212:213], v[68:69], v[128:143]// 00000000482C: D3E00080 060289D4
	v_exp_f32_e32 v85, v85                                     // 000000004834: 7EAA4155
	v_exp_f32_e32 v86, v86                                     // 000000004838: 7EAC4156
	v_mfma_f32_32x32x8_bf16 v[128:143], v[214:215], v[70:71], v[128:143]// 00000000483C: D3E00080 06028DD6
	v_exp_f32_e32 v87, v87                                     // 000000004844: 7EAE4157
	v_exp_f32_e32 v88, v88                                     // 000000004848: 7EB04158
	v_mfma_f32_32x32x8_bf16 v[144:159], v[216:217], v[64:65], v[144:159]// 00000000484C: D3E00090 064281D8
	v_exp_f32_e32 v89, v89                                     // 000000004854: 7EB24159
	v_exp_f32_e32 v90, v90                                     // 000000004858: 7EB4415A
	v_mfma_f32_32x32x8_bf16 v[144:159], v[218:219], v[66:67], v[144:159]// 00000000485C: D3E00090 064285DA
	v_exp_f32_e32 v91, v91                                     // 000000004864: 7EB6415B
	v_exp_f32_e32 v92, v92                                     // 000000004868: 7EB8415C
	v_mfma_f32_32x32x8_bf16 v[144:159], v[220:221], v[68:69], v[144:159]// 00000000486C: D3E00090 064289DC
	v_exp_f32_e32 v93, v93                                     // 000000004874: 7EBA415D
	v_exp_f32_e32 v94, v94                                     // 000000004878: 7EBC415E
	v_mfma_f32_32x32x8_bf16 v[144:159], v[222:223], v[70:71], v[144:159]// 00000000487C: D3E00090 06428DDE
	s_waitcnt vmcnt(8)                                         // 000000004884: BF8C0F78
	s_barrier                                                  // 000000004888: BF8A0000
	s_nop 11                                                   // 00000000488C: BF80000B
	s_nop 11                                                   // 000000004890: BF80000B
	ds_read_b128 v[192:195], v12                               // 000000004894: D9FE0000 C000000C
	ds_read_b128 v[196:199], v12 offset:32                     // 00000000489C: D9FE0020 C400000C
	ds_read_b128 v[200:203], v12 offset:64                     // 0000000048A4: D9FE0040 C800000C
	ds_read_b128 v[204:207], v12 offset:96                     // 0000000048AC: D9FE0060 CC00000C
	s_nop 15                                                   // 0000000048B4: BF80000F
	s_nop 15                                                   // 0000000048B8: BF80000F
	s_nop 10                                                   // 0000000048BC: BF80000A
	buffer_load_dword v224, v8, s[16:19], s35 offen            // 0000000048C0: E0501000 2304E008
	ds_read_b128 v[208:211], v12 offset:128                    // 0000000048C8: D9FE0080 D000000C
	ds_read_b128 v[212:215], v12 offset:160                    // 0000000048D0: D9FE00A0 D400000C
	buffer_load_dword v225, v9, s[16:19], s35 offen            // 0000000048D8: E0501000 2304E109
	ds_read_b128 v[216:219], v12 offset:192                    // 0000000048E0: D9FE00C0 D800000C
	ds_read_b128 v[220:223], v12 offset:224                    // 0000000048E8: D9FE00E0 DC00000C
	buffer_load_dword v226, v10, s[16:19], s35 offen           // 0000000048F0: E0501000 2304E20A
	buffer_load_dword v227, v11, s[16:19], s35 offen           // 0000000048F8: E0501000 2304E30B
	s_add_i32 s35, s44, s35                                    // 000000004900: 8123232C
	s_add_u32 s40, 0x60, s39                                   // 000000004904: 802827FF 00000060
	s_nop 0                                                    // 00000000490C: BF800000
	s_cmp_lt_u32 s40, s38                                      // 000000004910: BF0A2628
	s_cselect_b32 s44, s44, 0                                  // 000000004914: 852C802C
	s_add_i32 s52, s52, s53                                    // 000000004918: 81343534
	s_addk_i32 s39, 0x20                                       // 00000000491C: B7270020
	s_cmp_lt_i32 s39, s38                                      // 000000004920: BF042627
	s_nop 0                                                    // 000000004924: BF800000
	s_cbranch_scc0 label_0BA0                                  // 000000004928: BF840615
	s_waitcnt lgkmcnt(0)                                       // 00000000492C: BF8CC07F
	v_mfma_f32_32x32x8_bf16 v[64:79], v[192:193], v[160:161], 0// 000000004930: D3E00040 020341C0
	v_exp_f32_e32 v95, v95                                     // 000000004938: 7EBE415F
	v_mul_f32_e32 v22, v20, v22                                // 00000000493C: 0A2C2D14
	v_add_f32_e32 v38, v81, v80                                // 000000004940: 024CA151
	v_add_f32_e32 v38, v82, v38                                // 000000004944: 024C4D52
	v_mfma_f32_32x32x8_bf16 v[64:79], v[194:195], v[162:163], v[64:79]// 000000004948: D3E00040 050345C2
	v_add_f32_e32 v38, v83, v38                                // 000000004950: 024C4D53
	v_add_f32_e32 v38, v84, v38                                // 000000004954: 024C4D54
	v_add_f32_e32 v38, v85, v38                                // 000000004958: 024C4D55
	v_add_f32_e32 v38, v86, v38                                // 00000000495C: 024C4D56
	v_add_f32_e32 v38, v87, v38                                // 000000004960: 024C4D57
	v_add_f32_e32 v38, v88, v38                                // 000000004964: 024C4D58
	v_add_f32_e32 v38, v89, v38                                // 000000004968: 024C4D59
	v_mfma_f32_32x32x8_bf16 v[64:79], v[196:197], v[164:165], v[64:79]// 00000000496C: D3E00040 050349C4
	v_add_f32_e32 v38, v90, v38                                // 000000004974: 024C4D5A
	v_add_f32_e32 v38, v91, v38                                // 000000004978: 024C4D5B
	v_add_f32_e32 v38, v92, v38                                // 00000000497C: 024C4D5C
	v_add_f32_e32 v38, v93, v38                                // 000000004980: 024C4D5D
	v_add_f32_e32 v38, v94, v38                                // 000000004984: 024C4D5E
	v_add_f32_e32 v38, v95, v38                                // 000000004988: 024C4D5F
	v_add_f32_e32 v22, v38, v22                                // 00000000498C: 022C2D26
	v_mfma_f32_32x32x8_bf16 v[64:79], v[198:199], v[166:167], v[64:79]// 000000004990: D3E00040 05034DC6
	v_mul_f32_e32 v96, v20, v96                                // 000000004998: 0AC0C114
	v_mul_f32_e32 v97, v20, v97                                // 00000000499C: 0AC2C314
	v_mul_f32_e32 v98, v20, v98                                // 0000000049A0: 0AC4C514
	v_mul_f32_e32 v99, v20, v99                                // 0000000049A4: 0AC6C714
	v_mul_f32_e32 v100, v20, v100                              // 0000000049A8: 0AC8C914
	v_mul_f32_e32 v101, v20, v101                              // 0000000049AC: 0ACACB14
	v_mul_f32_e32 v102, v20, v102                              // 0000000049B0: 0ACCCD14
	v_mfma_f32_32x32x8_bf16 v[64:79], v[200:201], v[168:169], v[64:79]// 0000000049B4: D3E00040 050351C8
	v_mul_f32_e32 v103, v20, v103                              // 0000000049BC: 0ACECF14
	v_mul_f32_e32 v104, v20, v104                              // 0000000049C0: 0AD0D114
	v_mul_f32_e32 v105, v20, v105                              // 0000000049C4: 0AD2D314
	v_mul_f32_e32 v106, v20, v106                              // 0000000049C8: 0AD4D514
	v_mul_f32_e32 v107, v20, v107                              // 0000000049CC: 0AD6D714
	v_mul_f32_e32 v108, v20, v108                              // 0000000049D0: 0AD8D914
	v_mul_f32_e32 v109, v20, v109                              // 0000000049D4: 0ADADB14
	v_mfma_f32_32x32x8_bf16 v[64:79], v[202:203], v[170:171], v[64:79]// 0000000049D8: D3E00040 050355CA
	v_mul_f32_e32 v110, v20, v110                              // 0000000049E0: 0ADCDD14
	v_mul_f32_e32 v111, v20, v111                              // 0000000049E4: 0ADEDF14
	v_mul_f32_e32 v112, v20, v112                              // 0000000049E8: 0AE0E114
	v_mul_f32_e32 v113, v20, v113                              // 0000000049EC: 0AE2E314
	v_mul_f32_e32 v114, v20, v114                              // 0000000049F0: 0AE4E514
	v_mul_f32_e32 v115, v20, v115                              // 0000000049F4: 0AE6E714
	v_mul_f32_e32 v116, v20, v116                              // 0000000049F8: 0AE8E914
	v_mfma_f32_32x32x8_bf16 v[64:79], v[204:205], v[172:173], v[64:79]// 0000000049FC: D3E00040 050359CC
	v_mul_f32_e32 v117, v20, v117                              // 000000004A04: 0AEAEB14
	v_mul_f32_e32 v118, v20, v118                              // 000000004A08: 0AECED14
	v_mul_f32_e32 v119, v20, v119                              // 000000004A0C: 0AEEEF14
	v_mul_f32_e32 v120, v20, v120                              // 000000004A10: 0AF0F114
	v_mul_f32_e32 v121, v20, v121                              // 000000004A14: 0AF2F314
	v_mul_f32_e32 v122, v20, v122                              // 000000004A18: 0AF4F514
	v_mul_f32_e32 v123, v20, v123                              // 000000004A1C: 0AF6F714
	v_mfma_f32_32x32x8_bf16 v[64:79], v[206:207], v[174:175], v[64:79]// 000000004A20: D3E00040 05035DCE
	v_mul_f32_e32 v124, v20, v124                              // 000000004A28: 0AF8F914
	v_mul_f32_e32 v125, v20, v125                              // 000000004A2C: 0AFAFB14
	v_mul_f32_e32 v126, v20, v126                              // 000000004A30: 0AFCFD14
	v_mul_f32_e32 v127, v20, v127                              // 000000004A34: 0AFEFF14
	v_mul_f32_e32 v128, v20, v128                              // 000000004A38: 0B010114
	v_mul_f32_e32 v129, v20, v129                              // 000000004A3C: 0B030314
	v_mul_f32_e32 v130, v20, v130                              // 000000004A40: 0B050514
	v_mfma_f32_32x32x8_bf16 v[64:79], v[208:209], v[176:177], v[64:79]// 000000004A44: D3E00040 050361D0
	v_mul_f32_e32 v131, v20, v131                              // 000000004A4C: 0B070714
	v_mul_f32_e32 v132, v20, v132                              // 000000004A50: 0B090914
	v_mul_f32_e32 v133, v20, v133                              // 000000004A54: 0B0B0B14
	v_mul_f32_e32 v134, v20, v134                              // 000000004A58: 0B0D0D14
	v_mul_f32_e32 v135, v20, v135                              // 000000004A5C: 0B0F0F14
	v_mul_f32_e32 v136, v20, v136                              // 000000004A60: 0B111114
	v_mul_f32_e32 v137, v20, v137                              // 000000004A64: 0B131314
	v_mfma_f32_32x32x8_bf16 v[64:79], v[210:211], v[178:179], v[64:79]// 000000004A68: D3E00040 050365D2
	v_mul_f32_e32 v138, v20, v138                              // 000000004A70: 0B151514
	v_mul_f32_e32 v139, v20, v139                              // 000000004A74: 0B171714
	v_mul_f32_e32 v140, v20, v140                              // 000000004A78: 0B191914
	v_mul_f32_e32 v141, v20, v141                              // 000000004A7C: 0B1B1B14
	v_mul_f32_e32 v142, v20, v142                              // 000000004A80: 0B1D1D14
	v_mul_f32_e32 v143, v20, v143                              // 000000004A84: 0B1F1F14
	v_mul_f32_e32 v144, v20, v144                              // 000000004A88: 0B212114
	v_mfma_f32_32x32x8_bf16 v[64:79], v[212:213], v[180:181], v[64:79]// 000000004A8C: D3E00040 050369D4
	v_mul_f32_e32 v145, v20, v145                              // 000000004A94: 0B232314
	v_mul_f32_e32 v146, v20, v146                              // 000000004A98: 0B252514
	v_mul_f32_e32 v147, v20, v147                              // 000000004A9C: 0B272714
	v_mul_f32_e32 v148, v20, v148                              // 000000004AA0: 0B292914
	v_mul_f32_e32 v149, v20, v149                              // 000000004AA4: 0B2B2B14
	v_mul_f32_e32 v150, v20, v150                              // 000000004AA8: 0B2D2D14
	v_mul_f32_e32 v151, v20, v151                              // 000000004AAC: 0B2F2F14
	v_mfma_f32_32x32x8_bf16 v[64:79], v[214:215], v[182:183], v[64:79]// 000000004AB0: D3E00040 05036DD6
	s_waitcnt vmcnt(8)                                         // 000000004AB8: BF8C0F78
	s_barrier                                                  // 000000004ABC: BF8A0000
	v_mfma_f32_32x32x8_bf16 v[64:79], v[216:217], v[184:185], v[64:79]// 000000004AC0: D3E00040 050371D8
	v_mul_f32_e32 v152, v20, v152                              // 000000004AC8: 0B313114
	v_mul_f32_e32 v153, v20, v153                              // 000000004ACC: 0B333314
	v_mul_f32_e32 v154, v20, v154                              // 000000004AD0: 0B353514
	v_mul_f32_e32 v155, v20, v155                              // 000000004AD4: 0B373714
	v_mul_f32_e32 v156, v20, v156                              // 000000004AD8: 0B393914
	v_mul_f32_e32 v157, v20, v157                              // 000000004ADC: 0B3B3B14
	v_mul_f32_e32 v158, v20, v158                              // 000000004AE0: 0B3D3D14
	v_mfma_f32_32x32x8_bf16 v[64:79], v[218:219], v[186:187], v[64:79]// 000000004AE4: D3E00040 050375DA
	v_mul_f32_e32 v159, v20, v159                              // 000000004AEC: 0B3F3F14
	v_cmp_u_f32_e64 s[70:71], v80, v80                         // 000000004AF0: D0480046 0002A150
	v_add3_u32 v40, v80, v43, 1                                // 000000004AF8: D1FF0028 02065750
	v_cndmask_b32_e64 v16, v40, v42, s[70:71]                  // 000000004B00: D1000010 011A5528
	v_cmp_u_f32_e64 s[70:71], v81, v81                         // 000000004B08: D0480046 0002A351
	v_add3_u32 v40, v81, v43, 1                                // 000000004B10: D1FF0028 02065751
	v_cndmask_b32_e64 v17, v40, v42, s[70:71]                  // 000000004B18: D1000011 011A5528
	v_perm_b32 v80, v17, v16, s49                              // 000000004B20: D1ED0050 00C62111
	v_cmp_u_f32_e64 s[70:71], v82, v82                         // 000000004B28: D0480046 0002A552
	v_add3_u32 v40, v82, v43, 1                                // 000000004B30: D1FF0028 02065752
	v_cndmask_b32_e64 v16, v40, v42, s[70:71]                  // 000000004B38: D1000010 011A5528
	v_cmp_u_f32_e64 s[70:71], v83, v83                         // 000000004B40: D0480046 0002A753
	v_add3_u32 v40, v83, v43, 1                                // 000000004B48: D1FF0028 02065753
	v_cndmask_b32_e64 v17, v40, v42, s[70:71]                  // 000000004B50: D1000011 011A5528
	v_perm_b32 v81, v17, v16, s49                              // 000000004B58: D1ED0051 00C62111
	v_cmp_u_f32_e64 s[70:71], v84, v84                         // 000000004B60: D0480046 0002A954
	v_add3_u32 v40, v84, v43, 1                                // 000000004B68: D1FF0028 02065754
	v_cndmask_b32_e64 v16, v40, v42, s[70:71]                  // 000000004B70: D1000010 011A5528
	v_cmp_u_f32_e64 s[70:71], v85, v85                         // 000000004B78: D0480046 0002AB55
	v_add3_u32 v40, v85, v43, 1                                // 000000004B80: D1FF0028 02065755
	v_cndmask_b32_e64 v17, v40, v42, s[70:71]                  // 000000004B88: D1000011 011A5528
	v_perm_b32 v82, v17, v16, s49                              // 000000004B90: D1ED0052 00C62111
	v_mfma_f32_32x32x8_bf16 v[64:79], v[220:221], v[188:189], v[64:79]// 000000004B98: D3E00040 050379DC
	v_cmp_u_f32_e64 s[70:71], v86, v86                         // 000000004BA0: D0480046 0002AD56
	v_add3_u32 v40, v86, v43, 1                                // 000000004BA8: D1FF0028 02065756
	v_cndmask_b32_e64 v16, v40, v42, s[70:71]                  // 000000004BB0: D1000010 011A5528
	v_cmp_u_f32_e64 s[70:71], v87, v87                         // 000000004BB8: D0480046 0002AF57
	v_add3_u32 v40, v87, v43, 1                                // 000000004BC0: D1FF0028 02065757
	v_cndmask_b32_e64 v17, v40, v42, s[70:71]                  // 000000004BC8: D1000011 011A5528
	v_perm_b32 v83, v17, v16, s49                              // 000000004BD0: D1ED0053 00C62111
	v_cmp_u_f32_e64 s[70:71], v88, v88                         // 000000004BD8: D0480046 0002B158
	v_add3_u32 v40, v88, v43, 1                                // 000000004BE0: D1FF0028 02065758
	v_cndmask_b32_e64 v16, v40, v42, s[70:71]                  // 000000004BE8: D1000010 011A5528
	v_cmp_u_f32_e64 s[70:71], v89, v89                         // 000000004BF0: D0480046 0002B359
	v_add3_u32 v40, v89, v43, 1                                // 000000004BF8: D1FF0028 02065759
	v_cndmask_b32_e64 v17, v40, v42, s[70:71]                  // 000000004C00: D1000011 011A5528
	v_perm_b32 v84, v17, v16, s49                              // 000000004C08: D1ED0054 00C62111
	v_cmp_u_f32_e64 s[70:71], v90, v90                         // 000000004C10: D0480046 0002B55A
	v_add3_u32 v40, v90, v43, 1                                // 000000004C18: D1FF0028 0206575A
	v_cndmask_b32_e64 v16, v40, v42, s[70:71]                  // 000000004C20: D1000010 011A5528
	v_cmp_u_f32_e64 s[70:71], v91, v91                         // 000000004C28: D0480046 0002B75B
	v_add3_u32 v40, v91, v43, 1                                // 000000004C30: D1FF0028 0206575B
	v_cndmask_b32_e64 v17, v40, v42, s[70:71]                  // 000000004C38: D1000011 011A5528
	v_perm_b32 v85, v17, v16, s49                              // 000000004C40: D1ED0055 00C62111
	v_cmp_u_f32_e64 s[70:71], v92, v92                         // 000000004C48: D0480046 0002B95C
	v_add3_u32 v40, v92, v43, 1                                // 000000004C50: D1FF0028 0206575C
	v_cndmask_b32_e64 v16, v40, v42, s[70:71]                  // 000000004C58: D1000010 011A5528
	v_cmp_u_f32_e64 s[70:71], v93, v93                         // 000000004C60: D0480046 0002BB5D
	v_add3_u32 v40, v93, v43, 1                                // 000000004C68: D1FF0028 0206575D
	v_cndmask_b32_e64 v17, v40, v42, s[70:71]                  // 000000004C70: D1000011 011A5528
	v_perm_b32 v86, v17, v16, s49                              // 000000004C78: D1ED0056 00C62111
	v_cmp_u_f32_e64 s[70:71], v94, v94                         // 000000004C80: D0480046 0002BD5E
	v_add3_u32 v40, v94, v43, 1                                // 000000004C88: D1FF0028 0206575E
	v_cndmask_b32_e64 v16, v40, v42, s[70:71]                  // 000000004C90: D1000010 011A5528
	v_cmp_u_f32_e64 s[70:71], v95, v95                         // 000000004C98: D0480046 0002BF5F
	v_add3_u32 v40, v95, v43, 1                                // 000000004CA0: D1FF0028 0206575F
	v_cndmask_b32_e64 v17, v40, v42, s[70:71]                  // 000000004CA8: D1000011 011A5528
	v_perm_b32 v87, v17, v16, s49                              // 000000004CB0: D1ED0057 00C62111
	v_mfma_f32_32x32x8_bf16 v[64:79], v[222:223], v[190:191], v[64:79]// 000000004CB8: D3E00040 05037DDE
	v_perm_b32 v232, v229, v228, s50                           // 000000004CC0: D1ED00E8 00CBC9E5
	v_perm_b32 v234, v229, v228, s49                           // 000000004CC8: D1ED00EA 00C7C9E5
	v_perm_b32 v233, v231, v230, s50                           // 000000004CD0: D1ED00E9 00CBCDE7
	v_perm_b32 v235, v231, v230, s49                           // 000000004CD8: D1ED00EB 00C7CDE7
	s_barrier                                                  // 000000004CE0: BF8A0000
	ds_write_b64 v14, v[232:233] offset:17408                  // 000000004CE4: D89A4400 0000E80E
	ds_write_b64 v14, v[234:235] offset:21568                  // 000000004CEC: D89A5440 0000EA0E
	s_waitcnt lgkmcnt(0)                                       // 000000004CF4: BF8CC07F
	s_barrier                                                  // 000000004CF8: BF8A0000
	s_mov_b32 m0, s68                                          // 000000004CFC: BEFC0044
	ds_read_b64 v[192:193], v13 offset:17408                   // 000000004D00: D8EC4400 C000000D
	ds_read_b64 v[194:195], v13 offset:18432                   // 000000004D08: D8EC4800 C200000D
	ds_read_b64 v[196:197], v13 offset:19456                   // 000000004D10: D8EC4C00 C400000D
	ds_read_b64 v[198:199], v13 offset:20480                   // 000000004D18: D8EC5000 C600000D
	buffer_load_dword v4, s[12:15], s60 offen lds              // 000000004D20: E0511000 3C030004
	s_add_u32 m0, 0x880, m0                                    // 000000004D28: 807C7CFF 00000880
	ds_read_b64 v[200:201], v13 offset:17536                   // 000000004D30: D8EC4480 C800000D
	ds_read_b64 v[202:203], v13 offset:18560                   // 000000004D38: D8EC4880 CA00000D
	ds_read_b64 v[204:205], v13 offset:19584                   // 000000004D40: D8EC4C80 CC00000D
	ds_read_b64 v[206:207], v13 offset:20608                   // 000000004D48: D8EC5080 CE00000D
	buffer_load_dword v5, s[12:15], s60 offen lds              // 000000004D50: E0511000 3C030005
	s_add_u32 m0, 0x880, m0                                    // 000000004D58: 807C7CFF 00000880
	ds_read_b64 v[208:209], v13 offset:17664                   // 000000004D60: D8EC4500 D000000D
	ds_read_b64 v[210:211], v13 offset:18688                   // 000000004D68: D8EC4900 D200000D
	ds_read_b64 v[212:213], v13 offset:19712                   // 000000004D70: D8EC4D00 D400000D
	ds_read_b64 v[214:215], v13 offset:20736                   // 000000004D78: D8EC5100 D600000D
	buffer_load_dword v6, s[12:15], s60 offen lds              // 000000004D80: E0511000 3C030006
	s_add_u32 m0, 0x880, m0                                    // 000000004D88: 807C7CFF 00000880
	ds_read_b64 v[216:217], v13 offset:17792                   // 000000004D90: D8EC4580 D800000D
	ds_read_b64 v[218:219], v13 offset:18816                   // 000000004D98: D8EC4980 DA00000D
	ds_read_b64 v[220:221], v13 offset:19840                   // 000000004DA0: D8EC4D80 DC00000D
	ds_read_b64 v[222:223], v13 offset:20864                   // 000000004DA8: D8EC5180 DE00000D
	buffer_load_dword v7, s[12:15], s60 offen lds              // 000000004DB0: E0511000 3C030007
	s_add_u32 m0, 0x880, m0                                    // 000000004DB8: 807C7CFF 00000880
	s_add_i32 s60, s43, s60                                    // 000000004DC0: 813C3C2B
	s_add_u32 s40, 0x80, s39                                   // 000000004DC4: 802827FF 00000080
	s_cmp_lt_u32 s40, s38                                      // 000000004DCC: BF0A2628
	s_cselect_b32 s43, s43, 0                                  // 000000004DD0: 852B802B
	s_nop 0                                                    // 000000004DD4: BF800000
	s_cmp_lt_i32 s52, s54                                      // 000000004DD8: BF043634
	s_cbranch_scc1 label_06FB                                  // 000000004DDC: BF850043
	s_sub_i32 s40, s7, s52                                     // 000000004DE0: 81A83407
	v_sub_i32 v16, s40, v30                                    // 000000004DE4: D29D0010 00023C28
	v_cmp_lt_i32_e64 s[72:73], 0, v16                          // 000000004DEC: D0C10048 00022080
	v_cmp_lt_i32_e64 s[74:75], 1, v16                          // 000000004DF4: D0C1004A 00022081
	v_cndmask_b32_e64 v64, v31, v64, s[72:73]                  // 000000004DFC: D1000040 0122811F
	v_cndmask_b32_e64 v65, v31, v65, s[74:75]                  // 000000004E04: D1000041 012A831F
	v_cmp_lt_i32_e64 s[72:73], 2, v16                          // 000000004E0C: D0C10048 00022082
	v_cmp_lt_i32_e64 s[74:75], 3, v16                          // 000000004E14: D0C1004A 00022083
	v_cndmask_b32_e64 v66, v31, v66, s[72:73]                  // 000000004E1C: D1000042 0122851F
	v_cndmask_b32_e64 v67, v31, v67, s[74:75]                  // 000000004E24: D1000043 012A871F
	v_cmp_lt_i32_e64 s[72:73], 8, v16                          // 000000004E2C: D0C10048 00022088
	v_cmp_lt_i32_e64 s[74:75], 9, v16                          // 000000004E34: D0C1004A 00022089
	v_cndmask_b32_e64 v68, v31, v68, s[72:73]                  // 000000004E3C: D1000044 0122891F
	v_cndmask_b32_e64 v69, v31, v69, s[74:75]                  // 000000004E44: D1000045 012A8B1F
	v_cmp_lt_i32_e64 s[72:73], 10, v16                         // 000000004E4C: D0C10048 0002208A
	v_cmp_lt_i32_e64 s[74:75], 11, v16                         // 000000004E54: D0C1004A 0002208B
	v_cndmask_b32_e64 v70, v31, v70, s[72:73]                  // 000000004E5C: D1000046 01228D1F
	v_cndmask_b32_e64 v71, v31, v71, s[74:75]                  // 000000004E64: D1000047 012A8F1F
	v_cmp_lt_i32_e64 s[72:73], 16, v16                         // 000000004E6C: D0C10048 00022090
	v_cmp_lt_i32_e64 s[74:75], 17, v16                         // 000000004E74: D0C1004A 00022091
	v_cndmask_b32_e64 v72, v31, v72, s[72:73]                  // 000000004E7C: D1000048 0122911F
	v_cndmask_b32_e64 v73, v31, v73, s[74:75]                  // 000000004E84: D1000049 012A931F
	v_cmp_lt_i32_e64 s[72:73], 18, v16                         // 000000004E8C: D0C10048 00022092
	v_cmp_lt_i32_e64 s[74:75], 19, v16                         // 000000004E94: D0C1004A 00022093
	v_cndmask_b32_e64 v74, v31, v74, s[72:73]                  // 000000004E9C: D100004A 0122951F
	v_cndmask_b32_e64 v75, v31, v75, s[74:75]                  // 000000004EA4: D100004B 012A971F
	v_cmp_lt_i32_e64 s[72:73], 24, v16                         // 000000004EAC: D0C10048 00022098
	v_cmp_lt_i32_e64 s[74:75], 25, v16                         // 000000004EB4: D0C1004A 00022099
	v_cndmask_b32_e64 v76, v31, v76, s[72:73]                  // 000000004EBC: D100004C 0122991F
	v_cndmask_b32_e64 v77, v31, v77, s[74:75]                  // 000000004EC4: D100004D 012A9B1F
	v_cmp_lt_i32_e64 s[72:73], 26, v16                         // 000000004ECC: D0C10048 0002209A
	v_cmp_lt_i32_e64 s[74:75], 27, v16                         // 000000004ED4: D0C1004A 0002209B
	v_cndmask_b32_e64 v78, v31, v78, s[72:73]                  // 000000004EDC: D100004E 01229D1F
	v_cndmask_b32_e64 v79, v31, v79, s[74:75]                  // 000000004EE4: D100004F 012A9F1F

0000000000004eec <label_06FB>:
	s_nop 0                                                    // 000000004EEC: BF800000
	s_waitcnt lgkmcnt(0)                                       // 000000004EF0: BF8CC07F
	s_barrier                                                  // 000000004EF4: BF8A0000
	v_mfma_f32_32x32x8_bf16 v[96:111], v[192:193], v[80:81], v[96:111]// 000000004EF8: D3E00060 0582A1C0
	v_max3_f32 v25, v64, v65, v28                              // 000000004F00: D1D30019 04728340
	v_max3_f32 v25, v66, v67, v25                              // 000000004F08: D1D30019 04668742
	v_max3_f32 v25, v68, v69, v25                              // 000000004F10: D1D30019 04668B44
	v_max3_f32 v25, v70, v71, v25                              // 000000004F18: D1D30019 04668F46
	v_max3_f32 v25, v72, v73, v25                              // 000000004F20: D1D30019 04669348
	v_max3_f32 v25, v74, v75, v25                              // 000000004F28: D1D30019 0466974A
	v_max3_f32 v25, v76, v77, v25                              // 000000004F30: D1D30019 04669B4C
	v_mfma_f32_32x32x8_bf16 v[96:111], v[194:195], v[82:83], v[96:111]// 000000004F38: D3E00060 0582A5C2
	v_max3_f32 v25, v78, v79, v25                              // 000000004F40: D1D30019 04669F4E
	ds_permute_b32 v24, v32, v25                               // 000000004F48: D87C0000 18001920
	v_mfma_f32_32x32x8_bf16 v[96:111], v[196:197], v[84:85], v[96:111]// 000000004F50: D3E00060 0582A9C4
	v_nop                                                      // 000000004F58: 7E000000
	s_nop 0                                                    // 000000004F5C: BF800000
	v_mfma_f32_32x32x8_bf16 v[96:111], v[198:199], v[86:87], v[96:111]// 000000004F60: D3E00060 0582ADC6
	v_nop                                                      // 000000004F68: 7E000000
	v_mfma_f32_32x32x8_bf16 v[112:127], v[200:201], v[80:81], v[112:127]// 000000004F6C: D3E00070 05C2A1C8
	s_waitcnt lgkmcnt(0)                                       // 000000004F74: BF8CC07F
	v_max_f32_e32 v25, v24, v25                                // 000000004F78: 16323318
	v_sub_f32_e32 v20, v28, v25                                // 000000004F7C: 0428331C
	v_mov_b32_e32 v28, v25                                     // 000000004F80: 7E380319
	v_mul_f32_e32 v27, s56, v25                                // 000000004F84: 0A363238
	v_mul_f32_e32 v20, s56, v20                                // 000000004F88: 0A282838
	v_mfma_f32_32x32x8_bf16 v[112:127], v[202:203], v[82:83], v[112:127]// 000000004F8C: D3E00070 05C2A5CA
	v_exp_f32_e32 v20, v20                                     // 000000004F94: 7E284114
	v_fma_f32 v64, v64, s56, -v27                              // 000000004F98: D1CB0040 846C7140
	v_fma_f32 v65, v65, s56, -v27                              // 000000004FA0: D1CB0041 846C7141
	v_fma_f32 v66, v66, s56, -v27                              // 000000004FA8: D1CB0042 846C7142
	v_mfma_f32_32x32x8_bf16 v[112:127], v[204:205], v[84:85], v[112:127]// 000000004FB0: D3E00070 05C2A9CC
	v_fma_f32 v67, v67, s56, -v27                              // 000000004FB8: D1CB0043 846C7143
	v_fma_f32 v68, v68, s56, -v27                              // 000000004FC0: D1CB0044 846C7144
	v_fma_f32 v69, v69, s56, -v27                              // 000000004FC8: D1CB0045 846C7145
	v_fma_f32 v70, v70, s56, -v27                              // 000000004FD0: D1CB0046 846C7146
	v_fma_f32 v71, v71, s56, -v27                              // 000000004FD8: D1CB0047 846C7147
	v_fma_f32 v72, v72, s56, -v27                              // 000000004FE0: D1CB0048 846C7148
	v_fma_f32 v73, v73, s56, -v27                              // 000000004FE8: D1CB0049 846C7149
	v_mfma_f32_32x32x8_bf16 v[112:127], v[206:207], v[86:87], v[112:127]// 000000004FF0: D3E00070 05C2ADCE
	v_fma_f32 v74, v74, s56, -v27                              // 000000004FF8: D1CB004A 846C714A
	v_fma_f32 v75, v75, s56, -v27                              // 000000005000: D1CB004B 846C714B
	v_fma_f32 v76, v76, s56, -v27                              // 000000005008: D1CB004C 846C714C
	v_fma_f32 v77, v77, s56, -v27                              // 000000005010: D1CB004D 846C714D
	v_fma_f32 v78, v78, s56, -v27                              // 000000005018: D1CB004E 846C714E
	v_fma_f32 v79, v79, s56, -v27                              // 000000005020: D1CB004F 846C714F
	v_exp_f32_e32 v64, v64                                     // 000000005028: 7E804140
	v_mfma_f32_32x32x8_bf16 v[128:143], v[208:209], v[80:81], v[128:143]// 00000000502C: D3E00080 0602A1D0
	v_exp_f32_e32 v65, v65                                     // 000000005034: 7E824141
	v_exp_f32_e32 v66, v66                                     // 000000005038: 7E844142
	v_mfma_f32_32x32x8_bf16 v[128:143], v[210:211], v[82:83], v[128:143]// 00000000503C: D3E00080 0602A5D2
	v_exp_f32_e32 v67, v67                                     // 000000005044: 7E864143
	v_exp_f32_e32 v68, v68                                     // 000000005048: 7E884144
	v_mfma_f32_32x32x8_bf16 v[128:143], v[212:213], v[84:85], v[128:143]// 00000000504C: D3E00080 0602A9D4
	v_exp_f32_e32 v69, v69                                     // 000000005054: 7E8A4145
	v_exp_f32_e32 v70, v70                                     // 000000005058: 7E8C4146
	v_mfma_f32_32x32x8_bf16 v[128:143], v[214:215], v[86:87], v[128:143]// 00000000505C: D3E00080 0602ADD6
	v_exp_f32_e32 v71, v71                                     // 000000005064: 7E8E4147
	v_exp_f32_e32 v72, v72                                     // 000000005068: 7E904148
	v_mfma_f32_32x32x8_bf16 v[144:159], v[216:217], v[80:81], v[144:159]// 00000000506C: D3E00090 0642A1D8
	v_exp_f32_e32 v73, v73                                     // 000000005074: 7E924149
	v_exp_f32_e32 v74, v74                                     // 000000005078: 7E94414A
	v_mfma_f32_32x32x8_bf16 v[144:159], v[218:219], v[82:83], v[144:159]// 00000000507C: D3E00090 0642A5DA
	v_exp_f32_e32 v75, v75                                     // 000000005084: 7E96414B
	v_exp_f32_e32 v76, v76                                     // 000000005088: 7E98414C
	v_mfma_f32_32x32x8_bf16 v[144:159], v[220:221], v[84:85], v[144:159]// 00000000508C: D3E00090 0642A9DC
	v_exp_f32_e32 v77, v77                                     // 000000005094: 7E9A414D
	v_exp_f32_e32 v78, v78                                     // 000000005098: 7E9C414E
	v_mfma_f32_32x32x8_bf16 v[144:159], v[222:223], v[86:87], v[144:159]// 00000000509C: D3E00090 0642ADDE
	s_nop 0                                                    // 0000000050A4: BF800000
	s_waitcnt vmcnt(8)                                         // 0000000050A8: BF8C0F78
	s_barrier                                                  // 0000000050AC: BF8A0000
	s_nop 11                                                   // 0000000050B0: BF80000B
	s_nop 11                                                   // 0000000050B4: BF80000B
	ds_read_b128 v[192:195], v12 offset:8704                   // 0000000050B8: D9FE2200 C000000C
	ds_read_b128 v[196:199], v12 offset:8736                   // 0000000050C0: D9FE2220 C400000C
	ds_read_b128 v[200:203], v12 offset:8768                   // 0000000050C8: D9FE2240 C800000C
	ds_read_b128 v[204:207], v12 offset:8800                   // 0000000050D0: D9FE2260 CC00000C
	s_nop 15                                                   // 0000000050D8: BF80000F
	s_nop 15                                                   // 0000000050DC: BF80000F
	s_nop 10                                                   // 0000000050E0: BF80000A
	buffer_load_dword v228, v8, s[16:19], s35 offen            // 0000000050E4: E0501000 2304E408
	ds_read_b128 v[208:211], v12 offset:8832                   // 0000000050EC: D9FE2280 D000000C
	ds_read_b128 v[212:215], v12 offset:8864                   // 0000000050F4: D9FE22A0 D400000C
	buffer_load_dword v229, v9, s[16:19], s35 offen            // 0000000050FC: E0501000 2304E509
	ds_read_b128 v[216:219], v12 offset:8896                   // 000000005104: D9FE22C0 D800000C
	ds_read_b128 v[220:223], v12 offset:8928                   // 00000000510C: D9FE22E0 DC00000C
	buffer_load_dword v230, v10, s[16:19], s35 offen           // 000000005114: E0501000 2304E60A
	buffer_load_dword v231, v11, s[16:19], s35 offen           // 00000000511C: E0501000 2304E70B
	s_add_i32 s35, s44, s35                                    // 000000005124: 8123232C
	s_add_u32 s40, 0x60, s39                                   // 000000005128: 802827FF 00000060
	s_nop 0                                                    // 000000005130: BF800000
	s_cmp_lt_u32 s40, s38                                      // 000000005134: BF0A2628
	s_cselect_b32 s44, s44, 0                                  // 000000005138: 852C802C
	s_add_i32 s52, s52, s53                                    // 00000000513C: 81343534
	s_addk_i32 s39, 0x20                                       // 000000005140: B7270020
	s_cmp_lt_i32 s39, s38                                      // 000000005144: BF042627
	s_nop 0                                                    // 000000005148: BF800000
	s_cbranch_scc0 label_0BA0                                  // 00000000514C: BF84040C
	s_branch label_0383                                        // 000000005150: BF82FBEE

0000000000005154 <label_0795>:
	s_setprio 1                                                // 000000005154: BF8F0001
	s_barrier                                                  // 000000005158: BF8A0000

000000000000515c <label_0797>:
	buffer_load_dword v228, v8, s[16:19], s35 offen            // 00000000515C: E0501000 2304E408
	ds_read_b128 v[192:195], v12 offset:8704                   // 000000005164: D9FE2200 C000000C
	ds_read_b128 v[196:199], v12 offset:8736                   // 00000000516C: D9FE2220 C400000C
	buffer_load_dword v229, v9, s[16:19], s35 offen            // 000000005174: E0501000 2304E509
	ds_read_b128 v[200:203], v12 offset:8768                   // 00000000517C: D9FE2240 C800000C
	ds_read_b128 v[204:207], v12 offset:8800                   // 000000005184: D9FE2260 CC00000C
	buffer_load_dword v230, v10, s[16:19], s35 offen           // 00000000518C: E0501000 2304E60A
	ds_read_b128 v[208:211], v12 offset:8832                   // 000000005194: D9FE2280 D000000C
	ds_read_b128 v[212:215], v12 offset:8864                   // 00000000519C: D9FE22A0 D400000C
	buffer_load_dword v231, v11, s[16:19], s35 offen           // 0000000051A4: E0501000 2304E70B
	ds_read_b128 v[216:219], v12 offset:8896                   // 0000000051AC: D9FE22C0 D800000C
	ds_read_b128 v[220:223], v12 offset:8928                   // 0000000051B4: D9FE22E0 DC00000C
	s_add_i32 s35, s44, s35                                    // 0000000051BC: 8123232C
	s_add_u32 s40, 64, s39                                     // 0000000051C0: 802827C0
	s_nop 0                                                    // 0000000051C4: BF800000
	s_cmp_lt_u32 s40, s38                                      // 0000000051C8: BF0A2628
	s_cselect_b32 s44, s44, 0                                  // 0000000051CC: 852C802C
	s_waitcnt vmcnt(8) lgkmcnt(0)                              // 0000000051D0: BF8C0078
	s_barrier                                                  // 0000000051D4: BF8A0000
	v_perm_b32 v232, v225, v224, s50                           // 0000000051D8: D1ED00E8 00CBC1E1
	v_perm_b32 v234, v225, v224, s49                           // 0000000051E0: D1ED00EA 00C7C1E1
	v_perm_b32 v233, v227, v226, s50                           // 0000000051E8: D1ED00E9 00CBC5E3
	v_perm_b32 v235, v227, v226, s49                           // 0000000051F0: D1ED00EB 00C7C5E3
	ds_write_b64 v14, v[232:233] offset:17408                  // 0000000051F8: D89A4400 0000E80E
	ds_write_b64 v14, v[234:235] offset:21568                  // 000000005200: D89A5440 0000EA0E
	s_nop 0                                                    // 000000005208: BF800000
	s_barrier                                                  // 00000000520C: BF8A0000
	v_mfma_f32_32x32x8_bf16 v[80:95], v[192:193], v[160:161], 0// 000000005210: D3E00050 020341C0
	v_exp_f32_e32 v79, v79                                     // 000000005218: 7E9E414F
	v_mul_f32_e32 v22, v20, v22                                // 00000000521C: 0A2C2D14
	v_add_f32_e32 v38, v65, v64                                // 000000005220: 024C8141
	v_add_f32_e32 v38, v66, v38                                // 000000005224: 024C4D42
	v_mfma_f32_32x32x8_bf16 v[80:95], v[194:195], v[162:163], v[80:95]// 000000005228: D3E00050 054345C2
	v_add_f32_e32 v38, v67, v38                                // 000000005230: 024C4D43
	v_add_f32_e32 v38, v68, v38                                // 000000005234: 024C4D44
	v_add_f32_e32 v38, v69, v38                                // 000000005238: 024C4D45
	v_add_f32_e32 v38, v70, v38                                // 00000000523C: 024C4D46
	v_add_f32_e32 v38, v71, v38                                // 000000005240: 024C4D47
	v_add_f32_e32 v38, v72, v38                                // 000000005244: 024C4D48
	v_add_f32_e32 v38, v73, v38                                // 000000005248: 024C4D49
	v_mfma_f32_32x32x8_bf16 v[80:95], v[196:197], v[164:165], v[80:95]// 00000000524C: D3E00050 054349C4
	v_add_f32_e32 v38, v74, v38                                // 000000005254: 024C4D4A
	v_add_f32_e32 v38, v75, v38                                // 000000005258: 024C4D4B
	v_add_f32_e32 v38, v76, v38                                // 00000000525C: 024C4D4C
	v_add_f32_e32 v38, v77, v38                                // 000000005260: 024C4D4D
	v_add_f32_e32 v38, v78, v38                                // 000000005264: 024C4D4E
	v_add_f32_e32 v38, v79, v38                                // 000000005268: 024C4D4F
	v_add_f32_e32 v22, v38, v22                                // 00000000526C: 022C2D26
	v_mfma_f32_32x32x8_bf16 v[80:95], v[198:199], v[166:167], v[80:95]// 000000005270: D3E00050 05434DC6
	s_waitcnt lgkmcnt(0)                                       // 000000005278: BF8CC07F
	s_barrier                                                  // 00000000527C: BF8A0000
	v_mfma_f32_32x32x8_bf16 v[80:95], v[200:201], v[168:169], v[80:95]// 000000005280: D3E00050 054351C8
	v_mul_f32_e32 v96, v20, v96                                // 000000005288: 0AC0C114
	v_mul_f32_e32 v97, v20, v97                                // 00000000528C: 0AC2C314
	v_mul_f32_e32 v98, v20, v98                                // 000000005290: 0AC4C514
	v_mul_f32_e32 v99, v20, v99                                // 000000005294: 0AC6C714
	v_mul_f32_e32 v100, v20, v100                              // 000000005298: 0AC8C914
	v_mul_f32_e32 v101, v20, v101                              // 00000000529C: 0ACACB14
	v_mul_f32_e32 v102, v20, v102                              // 0000000052A0: 0ACCCD14
	v_mfma_f32_32x32x8_bf16 v[80:95], v[202:203], v[170:171], v[80:95]// 0000000052A4: D3E00050 054355CA
	v_mul_f32_e32 v103, v20, v103                              // 0000000052AC: 0ACECF14
	v_mul_f32_e32 v104, v20, v104                              // 0000000052B0: 0AD0D114
	v_mul_f32_e32 v105, v20, v105                              // 0000000052B4: 0AD2D314
	v_mul_f32_e32 v106, v20, v106                              // 0000000052B8: 0AD4D514
	v_mul_f32_e32 v107, v20, v107                              // 0000000052BC: 0AD6D714
	v_mul_f32_e32 v108, v20, v108                              // 0000000052C0: 0AD8D914
	v_mul_f32_e32 v109, v20, v109                              // 0000000052C4: 0ADADB14
	v_mfma_f32_32x32x8_bf16 v[80:95], v[204:205], v[172:173], v[80:95]// 0000000052C8: D3E00050 054359CC
	v_mul_f32_e32 v110, v20, v110                              // 0000000052D0: 0ADCDD14
	v_mul_f32_e32 v111, v20, v111                              // 0000000052D4: 0ADEDF14
	v_mul_f32_e32 v112, v20, v112                              // 0000000052D8: 0AE0E114
	v_mul_f32_e32 v113, v20, v113                              // 0000000052DC: 0AE2E314
	v_mul_f32_e32 v114, v20, v114                              // 0000000052E0: 0AE4E514
	v_mul_f32_e32 v115, v20, v115                              // 0000000052E4: 0AE6E714
	v_mul_f32_e32 v116, v20, v116                              // 0000000052E8: 0AE8E914
	v_mfma_f32_32x32x8_bf16 v[80:95], v[206:207], v[174:175], v[80:95]// 0000000052EC: D3E00050 05435DCE
	v_mul_f32_e32 v117, v20, v117                              // 0000000052F4: 0AEAEB14
	v_mul_f32_e32 v118, v20, v118                              // 0000000052F8: 0AECED14
	v_mul_f32_e32 v119, v20, v119                              // 0000000052FC: 0AEEEF14
	v_mul_f32_e32 v120, v20, v120                              // 000000005300: 0AF0F114
	v_mul_f32_e32 v121, v20, v121                              // 000000005304: 0AF2F314
	v_mul_f32_e32 v122, v20, v122                              // 000000005308: 0AF4F514
	v_mul_f32_e32 v123, v20, v123                              // 00000000530C: 0AF6F714
	v_mfma_f32_32x32x8_bf16 v[80:95], v[208:209], v[176:177], v[80:95]// 000000005310: D3E00050 054361D0
	v_mul_f32_e32 v124, v20, v124                              // 000000005318: 0AF8F914
	v_mul_f32_e32 v125, v20, v125                              // 00000000531C: 0AFAFB14
	v_mul_f32_e32 v126, v20, v126                              // 000000005320: 0AFCFD14
	v_mul_f32_e32 v127, v20, v127                              // 000000005324: 0AFEFF14
	v_mul_f32_e32 v128, v20, v128                              // 000000005328: 0B010114
	v_mul_f32_e32 v129, v20, v129                              // 00000000532C: 0B030314
	v_mul_f32_e32 v130, v20, v130                              // 000000005330: 0B050514
	v_mfma_f32_32x32x8_bf16 v[80:95], v[210:211], v[178:179], v[80:95]// 000000005334: D3E00050 054365D2
	v_mul_f32_e32 v131, v20, v131                              // 00000000533C: 0B070714
	v_mul_f32_e32 v132, v20, v132                              // 000000005340: 0B090914
	v_mul_f32_e32 v133, v20, v133                              // 000000005344: 0B0B0B14
	v_mul_f32_e32 v134, v20, v134                              // 000000005348: 0B0D0D14
	v_mul_f32_e32 v135, v20, v135                              // 00000000534C: 0B0F0F14
	v_mul_f32_e32 v136, v20, v136                              // 000000005350: 0B111114
	v_mul_f32_e32 v137, v20, v137                              // 000000005354: 0B131314
	v_mfma_f32_32x32x8_bf16 v[80:95], v[212:213], v[180:181], v[80:95]// 000000005358: D3E00050 054369D4
	v_mul_f32_e32 v138, v20, v138                              // 000000005360: 0B151514
	v_mul_f32_e32 v139, v20, v139                              // 000000005364: 0B171714
	v_mul_f32_e32 v140, v20, v140                              // 000000005368: 0B191914
	v_mul_f32_e32 v141, v20, v141                              // 00000000536C: 0B1B1B14
	v_mul_f32_e32 v142, v20, v142                              // 000000005370: 0B1D1D14
	v_mul_f32_e32 v143, v20, v143                              // 000000005374: 0B1F1F14
	v_mul_f32_e32 v144, v20, v144                              // 000000005378: 0B212114
	v_mfma_f32_32x32x8_bf16 v[80:95], v[214:215], v[182:183], v[80:95]// 00000000537C: D3E00050 05436DD6
	v_mul_f32_e32 v145, v20, v145                              // 000000005384: 0B232314
	v_mul_f32_e32 v146, v20, v146                              // 000000005388: 0B252514
	v_mul_f32_e32 v147, v20, v147                              // 00000000538C: 0B272714
	v_mul_f32_e32 v148, v20, v148                              // 000000005390: 0B292914
	v_mul_f32_e32 v149, v20, v149                              // 000000005394: 0B2B2B14
	v_mul_f32_e32 v150, v20, v150                              // 000000005398: 0B2D2D14
	v_mul_f32_e32 v151, v20, v151                              // 00000000539C: 0B2F2F14
	v_mfma_f32_32x32x8_bf16 v[80:95], v[216:217], v[184:185], v[80:95]// 0000000053A0: D3E00050 054371D8
	v_mul_f32_e32 v152, v20, v152                              // 0000000053A8: 0B313114
	v_mul_f32_e32 v153, v20, v153                              // 0000000053AC: 0B333314
	v_mul_f32_e32 v154, v20, v154                              // 0000000053B0: 0B353514
	v_mul_f32_e32 v155, v20, v155                              // 0000000053B4: 0B373714
	v_mul_f32_e32 v156, v20, v156                              // 0000000053B8: 0B393914
	v_mul_f32_e32 v157, v20, v157                              // 0000000053BC: 0B3B3B14
	v_mul_f32_e32 v158, v20, v158                              // 0000000053C0: 0B3D3D14
	v_mfma_f32_32x32x8_bf16 v[80:95], v[218:219], v[186:187], v[80:95]// 0000000053C4: D3E00050 054375DA
	v_mul_f32_e32 v159, v20, v159                              // 0000000053CC: 0B3F3F14
	v_cmp_u_f32_e64 s[70:71], v64, v64                         // 0000000053D0: D0480046 00028140
	v_add3_u32 v40, v64, v43, 1                                // 0000000053D8: D1FF0028 02065740
	v_cndmask_b32_e64 v16, v40, v42, s[70:71]                  // 0000000053E0: D1000010 011A5528
	v_cmp_u_f32_e64 s[70:71], v65, v65                         // 0000000053E8: D0480046 00028341
	v_add3_u32 v40, v65, v43, 1                                // 0000000053F0: D1FF0028 02065741
	v_cndmask_b32_e64 v17, v40, v42, s[70:71]                  // 0000000053F8: D1000011 011A5528
	v_perm_b32 v64, v17, v16, s49                              // 000000005400: D1ED0040 00C62111
	v_cmp_u_f32_e64 s[70:71], v66, v66                         // 000000005408: D0480046 00028542
	v_add3_u32 v40, v66, v43, 1                                // 000000005410: D1FF0028 02065742
	v_cndmask_b32_e64 v16, v40, v42, s[70:71]                  // 000000005418: D1000010 011A5528
	v_cmp_u_f32_e64 s[70:71], v67, v67                         // 000000005420: D0480046 00028743
	v_add3_u32 v40, v67, v43, 1                                // 000000005428: D1FF0028 02065743
	v_cndmask_b32_e64 v17, v40, v42, s[70:71]                  // 000000005430: D1000011 011A5528
	v_perm_b32 v65, v17, v16, s49                              // 000000005438: D1ED0041 00C62111
	v_cmp_u_f32_e64 s[70:71], v68, v68                         // 000000005440: D0480046 00028944
	v_add3_u32 v40, v68, v43, 1                                // 000000005448: D1FF0028 02065744
	v_cndmask_b32_e64 v16, v40, v42, s[70:71]                  // 000000005450: D1000010 011A5528
	v_cmp_u_f32_e64 s[70:71], v69, v69                         // 000000005458: D0480046 00028B45
	v_add3_u32 v40, v69, v43, 1                                // 000000005460: D1FF0028 02065745
	v_cndmask_b32_e64 v17, v40, v42, s[70:71]                  // 000000005468: D1000011 011A5528
	v_perm_b32 v66, v17, v16, s49                              // 000000005470: D1ED0042 00C62111
	v_cmp_u_f32_e64 s[70:71], v70, v70                         // 000000005478: D0480046 00028D46
	v_add3_u32 v40, v70, v43, 1                                // 000000005480: D1FF0028 02065746
	v_cndmask_b32_e64 v16, v40, v42, s[70:71]                  // 000000005488: D1000010 011A5528
	v_cmp_u_f32_e64 s[70:71], v71, v71                         // 000000005490: D0480046 00028F47
	v_add3_u32 v40, v71, v43, 1                                // 000000005498: D1FF0028 02065747
	v_cndmask_b32_e64 v17, v40, v42, s[70:71]                  // 0000000054A0: D1000011 011A5528
	v_perm_b32 v67, v17, v16, s49                              // 0000000054A8: D1ED0043 00C62111
	v_cmp_u_f32_e64 s[70:71], v72, v72                         // 0000000054B0: D0480046 00029148
	v_add3_u32 v40, v72, v43, 1                                // 0000000054B8: D1FF0028 02065748
	v_cndmask_b32_e64 v16, v40, v42, s[70:71]                  // 0000000054C0: D1000010 011A5528
	v_cmp_u_f32_e64 s[70:71], v73, v73                         // 0000000054C8: D0480046 00029349
	v_add3_u32 v40, v73, v43, 1                                // 0000000054D0: D1FF0028 02065749
	v_cndmask_b32_e64 v17, v40, v42, s[70:71]                  // 0000000054D8: D1000011 011A5528
	v_perm_b32 v68, v17, v16, s49                              // 0000000054E0: D1ED0044 00C62111
	v_cmp_u_f32_e64 s[70:71], v74, v74                         // 0000000054E8: D0480046 0002954A
	v_add3_u32 v40, v74, v43, 1                                // 0000000054F0: D1FF0028 0206574A
	v_cndmask_b32_e64 v16, v40, v42, s[70:71]                  // 0000000054F8: D1000010 011A5528
	v_cmp_u_f32_e64 s[70:71], v75, v75                         // 000000005500: D0480046 0002974B
	v_add3_u32 v40, v75, v43, 1                                // 000000005508: D1FF0028 0206574B
	v_cndmask_b32_e64 v17, v40, v42, s[70:71]                  // 000000005510: D1000011 011A5528
	v_perm_b32 v69, v17, v16, s49                              // 000000005518: D1ED0045 00C62111
	v_mfma_f32_32x32x8_bf16 v[80:95], v[220:221], v[188:189], v[80:95]// 000000005520: D3E00050 054379DC
	v_cmp_u_f32_e64 s[70:71], v76, v76                         // 000000005528: D0480046 0002994C
	v_add3_u32 v40, v76, v43, 1                                // 000000005530: D1FF0028 0206574C
	v_cndmask_b32_e64 v16, v40, v42, s[70:71]                  // 000000005538: D1000010 011A5528
	v_cmp_u_f32_e64 s[70:71], v77, v77                         // 000000005540: D0480046 00029B4D
	v_add3_u32 v40, v77, v43, 1                                // 000000005548: D1FF0028 0206574D
	v_cndmask_b32_e64 v17, v40, v42, s[70:71]                  // 000000005550: D1000011 011A5528
	v_perm_b32 v70, v17, v16, s49                              // 000000005558: D1ED0046 00C62111
	v_cmp_u_f32_e64 s[70:71], v78, v78                         // 000000005560: D0480046 00029D4E
	v_add3_u32 v40, v78, v43, 1                                // 000000005568: D1FF0028 0206574E
	v_cndmask_b32_e64 v16, v40, v42, s[70:71]                  // 000000005570: D1000010 011A5528
	v_cmp_u_f32_e64 s[70:71], v79, v79                         // 000000005578: D0480046 00029F4F
	v_add3_u32 v40, v79, v43, 1                                // 000000005580: D1FF0028 0206574F
	v_cndmask_b32_e64 v17, v40, v42, s[70:71]                  // 000000005588: D1000011 011A5528
	v_perm_b32 v71, v17, v16, s49                              // 000000005590: D1ED0047 00C62111
	v_mfma_f32_32x32x8_bf16 v[80:95], v[222:223], v[190:191], v[80:95]// 000000005598: D3E00050 05437DDE
	s_barrier                                                  // 0000000055A0: BF8A0000
	s_cmp_lt_i32 s52, s54                                      // 0000000055A4: BF043634
	s_cbranch_scc1 label_08EE                                  // 0000000055A8: BF850043
	s_sub_i32 s40, s7, s52                                     // 0000000055AC: 81A83407
	v_sub_i32 v16, s40, v30                                    // 0000000055B0: D29D0010 00023C28
	v_cmp_lt_i32_e64 s[72:73], 0, v16                          // 0000000055B8: D0C10048 00022080
	v_cmp_lt_i32_e64 s[74:75], 1, v16                          // 0000000055C0: D0C1004A 00022081
	v_cndmask_b32_e64 v80, v31, v80, s[72:73]                  // 0000000055C8: D1000050 0122A11F
	v_cndmask_b32_e64 v81, v31, v81, s[74:75]                  // 0000000055D0: D1000051 012AA31F
	v_cmp_lt_i32_e64 s[72:73], 2, v16                          // 0000000055D8: D0C10048 00022082
	v_cmp_lt_i32_e64 s[74:75], 3, v16                          // 0000000055E0: D0C1004A 00022083
	v_cndmask_b32_e64 v82, v31, v82, s[72:73]                  // 0000000055E8: D1000052 0122A51F
	v_cndmask_b32_e64 v83, v31, v83, s[74:75]                  // 0000000055F0: D1000053 012AA71F
	v_cmp_lt_i32_e64 s[72:73], 8, v16                          // 0000000055F8: D0C10048 00022088
	v_cmp_lt_i32_e64 s[74:75], 9, v16                          // 000000005600: D0C1004A 00022089
	v_cndmask_b32_e64 v84, v31, v84, s[72:73]                  // 000000005608: D1000054 0122A91F
	v_cndmask_b32_e64 v85, v31, v85, s[74:75]                  // 000000005610: D1000055 012AAB1F
	v_cmp_lt_i32_e64 s[72:73], 10, v16                         // 000000005618: D0C10048 0002208A
	v_cmp_lt_i32_e64 s[74:75], 11, v16                         // 000000005620: D0C1004A 0002208B
	v_cndmask_b32_e64 v86, v31, v86, s[72:73]                  // 000000005628: D1000056 0122AD1F
	v_cndmask_b32_e64 v87, v31, v87, s[74:75]                  // 000000005630: D1000057 012AAF1F
	v_cmp_lt_i32_e64 s[72:73], 16, v16                         // 000000005638: D0C10048 00022090
	v_cmp_lt_i32_e64 s[74:75], 17, v16                         // 000000005640: D0C1004A 00022091
	v_cndmask_b32_e64 v88, v31, v88, s[72:73]                  // 000000005648: D1000058 0122B11F
	v_cndmask_b32_e64 v89, v31, v89, s[74:75]                  // 000000005650: D1000059 012AB31F
	v_cmp_lt_i32_e64 s[72:73], 18, v16                         // 000000005658: D0C10048 00022092
	v_cmp_lt_i32_e64 s[74:75], 19, v16                         // 000000005660: D0C1004A 00022093
	v_cndmask_b32_e64 v90, v31, v90, s[72:73]                  // 000000005668: D100005A 0122B51F
	v_cndmask_b32_e64 v91, v31, v91, s[74:75]                  // 000000005670: D100005B 012AB71F
	v_cmp_lt_i32_e64 s[72:73], 24, v16                         // 000000005678: D0C10048 00022098
	v_cmp_lt_i32_e64 s[74:75], 25, v16                         // 000000005680: D0C1004A 00022099
	v_cndmask_b32_e64 v92, v31, v92, s[72:73]                  // 000000005688: D100005C 0122B91F
	v_cndmask_b32_e64 v93, v31, v93, s[74:75]                  // 000000005690: D100005D 012ABB1F
	v_cmp_lt_i32_e64 s[72:73], 26, v16                         // 000000005698: D0C10048 0002209A
	v_cmp_lt_i32_e64 s[74:75], 27, v16                         // 0000000056A0: D0C1004A 0002209B
	v_cndmask_b32_e64 v94, v31, v94, s[72:73]                  // 0000000056A8: D100005E 0122BD1F
	v_cndmask_b32_e64 v95, v31, v95, s[74:75]                  // 0000000056B0: D100005F 012ABF1F

00000000000056b8 <label_08EE>:
	s_nop 0                                                    // 0000000056B8: BF800000
	s_nop 0                                                    // 0000000056BC: BF800000
	s_nop 14                                                   // 0000000056C0: BF80000E
	s_mov_b32 m0, s69                                          // 0000000056C4: BEFC0045
	ds_read_b64 v[192:193], v13 offset:17408                   // 0000000056C8: D8EC4400 C000000D
	ds_read_b64 v[194:195], v13 offset:18432                   // 0000000056D0: D8EC4800 C200000D
	ds_read_b64 v[196:197], v13 offset:19456                   // 0000000056D8: D8EC4C00 C400000D
	ds_read_b64 v[198:199], v13 offset:20480                   // 0000000056E0: D8EC5000 C600000D
	ds_read_b64 v[200:201], v13 offset:17536                   // 0000000056E8: D8EC4480 C800000D
	ds_read_b64 v[202:203], v13 offset:18560                   // 0000000056F0: D8EC4880 CA00000D
	ds_read_b64 v[204:205], v13 offset:19584                   // 0000000056F8: D8EC4C80 CC00000D
	ds_read_b64 v[206:207], v13 offset:20608                   // 000000005700: D8EC5080 CE00000D
	s_nop 15                                                   // 000000005708: BF80000F
	s_nop 15                                                   // 00000000570C: BF80000F
	buffer_load_dword v4, s[12:15], s60 offen lds              // 000000005710: E0511000 3C030004
	s_add_u32 m0, 0x880, m0                                    // 000000005718: 807C7CFF 00000880
	ds_read_b64 v[208:209], v13 offset:17664                   // 000000005720: D8EC4500 D000000D
	ds_read_b64 v[210:211], v13 offset:18688                   // 000000005728: D8EC4900 D200000D
	ds_read_b64 v[212:213], v13 offset:19712                   // 000000005730: D8EC4D00 D400000D
	ds_read_b64 v[214:215], v13 offset:20736                   // 000000005738: D8EC5100 D600000D
	buffer_load_dword v5, s[12:15], s60 offen lds              // 000000005740: E0511000 3C030005
	s_add_u32 m0, 0x880, m0                                    // 000000005748: 807C7CFF 00000880
	ds_read_b64 v[216:217], v13 offset:17792                   // 000000005750: D8EC4580 D800000D
	ds_read_b64 v[218:219], v13 offset:18816                   // 000000005758: D8EC4980 DA00000D
	ds_read_b64 v[220:221], v13 offset:19840                   // 000000005760: D8EC4D80 DC00000D
	ds_read_b64 v[222:223], v13 offset:20864                   // 000000005768: D8EC5180 DE00000D
	buffer_load_dword v6, s[12:15], s60 offen lds              // 000000005770: E0511000 3C030006
	s_add_u32 m0, 0x880, m0                                    // 000000005778: 807C7CFF 00000880
	buffer_load_dword v7, s[12:15], s60 offen lds              // 000000005780: E0511000 3C030007
	s_add_u32 m0, 0x880, m0                                    // 000000005788: 807C7CFF 00000880
	s_add_i32 s60, s43, s60                                    // 000000005790: 813C3C2B
	s_add_u32 s40, 0x80, s39                                   // 000000005794: 802827FF 00000080
	s_cmp_lt_u32 s40, s38                                      // 00000000579C: BF0A2628
	s_cselect_b32 s43, s43, 0                                  // 0000000057A0: 852B802B
	s_add_i32 s52, s52, s53                                    // 0000000057A4: 81343534
	s_addk_i32 s39, 0x20                                       // 0000000057A8: B7270020
	s_cmp_lt_i32 s39, s38                                      // 0000000057AC: BF042627
	s_waitcnt vmcnt(8) lgkmcnt(0)                              // 0000000057B0: BF8C0078
	s_barrier                                                  // 0000000057B4: BF8A0000
	v_mfma_f32_32x32x8_bf16 v[96:111], v[192:193], v[64:65], v[96:111]// 0000000057B8: D3E00060 058281C0
	v_max3_f32 v25, v80, v81, v28                              // 0000000057C0: D1D30019 0472A350
	v_max3_f32 v25, v82, v83, v25                              // 0000000057C8: D1D30019 0466A752
	v_max3_f32 v25, v84, v85, v25                              // 0000000057D0: D1D30019 0466AB54
	v_max3_f32 v25, v86, v87, v25                              // 0000000057D8: D1D30019 0466AF56
	v_max3_f32 v25, v88, v89, v25                              // 0000000057E0: D1D30019 0466B358
	v_max3_f32 v25, v90, v91, v25                              // 0000000057E8: D1D30019 0466B75A
	v_max3_f32 v25, v92, v93, v25                              // 0000000057F0: D1D30019 0466BB5C
	v_mfma_f32_32x32x8_bf16 v[96:111], v[194:195], v[66:67], v[96:111]// 0000000057F8: D3E00060 058285C2
	v_max3_f32 v25, v94, v95, v25                              // 000000005800: D1D30019 0466BF5E
	ds_permute_b32 v24, v32, v25                               // 000000005808: D87C0000 18001920
	v_mfma_f32_32x32x8_bf16 v[96:111], v[196:197], v[68:69], v[96:111]// 000000005810: D3E00060 058289C4
	v_nop                                                      // 000000005818: 7E000000
	s_nop 0                                                    // 00000000581C: BF800000
	v_mfma_f32_32x32x8_bf16 v[96:111], v[198:199], v[70:71], v[96:111]// 000000005820: D3E00060 05828DC6
	v_nop                                                      // 000000005828: 7E000000
	v_mfma_f32_32x32x8_bf16 v[112:127], v[200:201], v[64:65], v[112:127]// 00000000582C: D3E00070 05C281C8
	s_waitcnt lgkmcnt(0)                                       // 000000005834: BF8CC07F
	v_max_f32_e32 v25, v24, v25                                // 000000005838: 16323318
	v_sub_f32_e32 v20, v28, v25                                // 00000000583C: 0428331C
	v_mov_b32_e32 v28, v25                                     // 000000005840: 7E380319
	v_mul_f32_e32 v27, s56, v25                                // 000000005844: 0A363238
	v_mul_f32_e32 v20, s56, v20                                // 000000005848: 0A282838
	v_mfma_f32_32x32x8_bf16 v[112:127], v[202:203], v[66:67], v[112:127]// 00000000584C: D3E00070 05C285CA
	v_exp_f32_e32 v20, v20                                     // 000000005854: 7E284114
	v_fma_f32 v80, v80, s56, -v27                              // 000000005858: D1CB0050 846C7150
	v_fma_f32 v81, v81, s56, -v27                              // 000000005860: D1CB0051 846C7151
	v_fma_f32 v82, v82, s56, -v27                              // 000000005868: D1CB0052 846C7152
	v_mfma_f32_32x32x8_bf16 v[112:127], v[204:205], v[68:69], v[112:127]// 000000005870: D3E00070 05C289CC
	v_fma_f32 v83, v83, s56, -v27                              // 000000005878: D1CB0053 846C7153
	v_fma_f32 v84, v84, s56, -v27                              // 000000005880: D1CB0054 846C7154
	v_fma_f32 v85, v85, s56, -v27                              // 000000005888: D1CB0055 846C7155
	v_fma_f32 v86, v86, s56, -v27                              // 000000005890: D1CB0056 846C7156
	v_fma_f32 v87, v87, s56, -v27                              // 000000005898: D1CB0057 846C7157
	v_fma_f32 v88, v88, s56, -v27                              // 0000000058A0: D1CB0058 846C7158
	v_fma_f32 v89, v89, s56, -v27                              // 0000000058A8: D1CB0059 846C7159
	v_mfma_f32_32x32x8_bf16 v[112:127], v[206:207], v[70:71], v[112:127]// 0000000058B0: D3E00070 05C28DCE
	v_fma_f32 v90, v90, s56, -v27                              // 0000000058B8: D1CB005A 846C715A
	v_fma_f32 v91, v91, s56, -v27                              // 0000000058C0: D1CB005B 846C715B
	v_fma_f32 v92, v92, s56, -v27                              // 0000000058C8: D1CB005C 846C715C
	v_fma_f32 v93, v93, s56, -v27                              // 0000000058D0: D1CB005D 846C715D
	v_fma_f32 v94, v94, s56, -v27                              // 0000000058D8: D1CB005E 846C715E
	v_fma_f32 v95, v95, s56, -v27                              // 0000000058E0: D1CB005F 846C715F
	v_exp_f32_e32 v80, v80                                     // 0000000058E8: 7EA04150
	v_mfma_f32_32x32x8_bf16 v[128:143], v[208:209], v[64:65], v[128:143]// 0000000058EC: D3E00080 060281D0
	v_exp_f32_e32 v81, v81                                     // 0000000058F4: 7EA24151
	v_exp_f32_e32 v82, v82                                     // 0000000058F8: 7EA44152
	v_mfma_f32_32x32x8_bf16 v[128:143], v[210:211], v[66:67], v[128:143]// 0000000058FC: D3E00080 060285D2
	v_exp_f32_e32 v83, v83                                     // 000000005904: 7EA64153
	v_exp_f32_e32 v84, v84                                     // 000000005908: 7EA84154
	v_mfma_f32_32x32x8_bf16 v[128:143], v[212:213], v[68:69], v[128:143]// 00000000590C: D3E00080 060289D4
	v_exp_f32_e32 v85, v85                                     // 000000005914: 7EAA4155
	v_exp_f32_e32 v86, v86                                     // 000000005918: 7EAC4156
	v_mfma_f32_32x32x8_bf16 v[128:143], v[214:215], v[70:71], v[128:143]// 00000000591C: D3E00080 06028DD6
	v_exp_f32_e32 v87, v87                                     // 000000005924: 7EAE4157
	v_exp_f32_e32 v88, v88                                     // 000000005928: 7EB04158
	v_mfma_f32_32x32x8_bf16 v[144:159], v[216:217], v[64:65], v[144:159]// 00000000592C: D3E00090 064281D8
	v_exp_f32_e32 v89, v89                                     // 000000005934: 7EB24159
	v_exp_f32_e32 v90, v90                                     // 000000005938: 7EB4415A
	v_mfma_f32_32x32x8_bf16 v[144:159], v[218:219], v[66:67], v[144:159]// 00000000593C: D3E00090 064285DA
	v_exp_f32_e32 v91, v91                                     // 000000005944: 7EB6415B
	v_exp_f32_e32 v92, v92                                     // 000000005948: 7EB8415C
	v_mfma_f32_32x32x8_bf16 v[144:159], v[220:221], v[68:69], v[144:159]// 00000000594C: D3E00090 064289DC
	v_exp_f32_e32 v93, v93                                     // 000000005954: 7EBA415D
	v_exp_f32_e32 v94, v94                                     // 000000005958: 7EBC415E
	v_mfma_f32_32x32x8_bf16 v[144:159], v[222:223], v[70:71], v[144:159]// 00000000595C: D3E00090 06428DDE
	v_nop                                                      // 000000005964: 7E000000
	s_cbranch_scc0 label_0BA0                                  // 000000005968: BF840205
	buffer_load_dword v224, v8, s[16:19], s35 offen            // 00000000596C: E0501000 2304E008
	ds_read_b128 v[192:195], v12                               // 000000005974: D9FE0000 C000000C
	ds_read_b128 v[196:199], v12 offset:32                     // 00000000597C: D9FE0020 C400000C
	buffer_load_dword v225, v9, s[16:19], s35 offen            // 000000005984: E0501000 2304E109
	ds_read_b128 v[200:203], v12 offset:64                     // 00000000598C: D9FE0040 C800000C
	ds_read_b128 v[204:207], v12 offset:96                     // 000000005994: D9FE0060 CC00000C
	buffer_load_dword v226, v10, s[16:19], s35 offen           // 00000000599C: E0501000 2304E20A
	ds_read_b128 v[208:211], v12 offset:128                    // 0000000059A4: D9FE0080 D000000C
	ds_read_b128 v[212:215], v12 offset:160                    // 0000000059AC: D9FE00A0 D400000C
	buffer_load_dword v227, v11, s[16:19], s35 offen           // 0000000059B4: E0501000 2304E30B
	ds_read_b128 v[216:219], v12 offset:192                    // 0000000059BC: D9FE00C0 D800000C
	ds_read_b128 v[220:223], v12 offset:224                    // 0000000059C4: D9FE00E0 DC00000C
	s_add_i32 s35, s44, s35                                    // 0000000059CC: 8123232C
	s_add_u32 s40, 64, s39                                     // 0000000059D0: 802827C0
	s_nop 0                                                    // 0000000059D4: BF800000
	s_cmp_lt_u32 s40, s38                                      // 0000000059D8: BF0A2628
	s_cselect_b32 s44, s44, 0                                  // 0000000059DC: 852C802C
	s_waitcnt vmcnt(8) lgkmcnt(0)                              // 0000000059E0: BF8C0078
	s_barrier                                                  // 0000000059E4: BF8A0000
	v_perm_b32 v232, v229, v228, s50                           // 0000000059E8: D1ED00E8 00CBC9E5
	v_perm_b32 v234, v229, v228, s49                           // 0000000059F0: D1ED00EA 00C7C9E5
	v_perm_b32 v233, v231, v230, s50                           // 0000000059F8: D1ED00E9 00CBCDE7
	v_perm_b32 v235, v231, v230, s49                           // 000000005A00: D1ED00EB 00C7CDE7
	ds_write_b64 v14, v[232:233] offset:17408                  // 000000005A08: D89A4400 0000E80E
	ds_write_b64 v14, v[234:235] offset:21568                  // 000000005A10: D89A5440 0000EA0E
	s_nop 0                                                    // 000000005A18: BF800000
	s_barrier                                                  // 000000005A1C: BF8A0000
	v_mfma_f32_32x32x8_bf16 v[64:79], v[192:193], v[160:161], 0// 000000005A20: D3E00040 020341C0
	v_exp_f32_e32 v95, v95                                     // 000000005A28: 7EBE415F
	v_mul_f32_e32 v22, v20, v22                                // 000000005A2C: 0A2C2D14
	v_add_f32_e32 v38, v81, v80                                // 000000005A30: 024CA151
	v_add_f32_e32 v38, v82, v38                                // 000000005A34: 024C4D52
	v_mfma_f32_32x32x8_bf16 v[64:79], v[194:195], v[162:163], v[64:79]// 000000005A38: D3E00040 050345C2
	v_add_f32_e32 v38, v83, v38                                // 000000005A40: 024C4D53
	v_add_f32_e32 v38, v84, v38                                // 000000005A44: 024C4D54
	v_add_f32_e32 v38, v85, v38                                // 000000005A48: 024C4D55
	v_add_f32_e32 v38, v86, v38                                // 000000005A4C: 024C4D56
	v_add_f32_e32 v38, v87, v38                                // 000000005A50: 024C4D57
	v_add_f32_e32 v38, v88, v38                                // 000000005A54: 024C4D58
	v_add_f32_e32 v38, v89, v38                                // 000000005A58: 024C4D59
	v_mfma_f32_32x32x8_bf16 v[64:79], v[196:197], v[164:165], v[64:79]// 000000005A5C: D3E00040 050349C4
	v_add_f32_e32 v38, v90, v38                                // 000000005A64: 024C4D5A
	v_add_f32_e32 v38, v91, v38                                // 000000005A68: 024C4D5B
	v_add_f32_e32 v38, v92, v38                                // 000000005A6C: 024C4D5C
	v_add_f32_e32 v38, v93, v38                                // 000000005A70: 024C4D5D
	v_add_f32_e32 v38, v94, v38                                // 000000005A74: 024C4D5E
	v_add_f32_e32 v38, v95, v38                                // 000000005A78: 024C4D5F
	v_add_f32_e32 v22, v38, v22                                // 000000005A7C: 022C2D26
	v_mfma_f32_32x32x8_bf16 v[64:79], v[198:199], v[166:167], v[64:79]// 000000005A80: D3E00040 05034DC6
	s_waitcnt lgkmcnt(0)                                       // 000000005A88: BF8CC07F
	s_barrier                                                  // 000000005A8C: BF8A0000
	v_mfma_f32_32x32x8_bf16 v[64:79], v[200:201], v[168:169], v[64:79]// 000000005A90: D3E00040 050351C8
	v_mul_f32_e32 v96, v20, v96                                // 000000005A98: 0AC0C114
	v_mul_f32_e32 v97, v20, v97                                // 000000005A9C: 0AC2C314
	v_mul_f32_e32 v98, v20, v98                                // 000000005AA0: 0AC4C514
	v_mul_f32_e32 v99, v20, v99                                // 000000005AA4: 0AC6C714
	v_mul_f32_e32 v100, v20, v100                              // 000000005AA8: 0AC8C914
	v_mul_f32_e32 v101, v20, v101                              // 000000005AAC: 0ACACB14
	v_mul_f32_e32 v102, v20, v102                              // 000000005AB0: 0ACCCD14
	v_mfma_f32_32x32x8_bf16 v[64:79], v[202:203], v[170:171], v[64:79]// 000000005AB4: D3E00040 050355CA
	v_mul_f32_e32 v103, v20, v103                              // 000000005ABC: 0ACECF14
	v_mul_f32_e32 v104, v20, v104                              // 000000005AC0: 0AD0D114
	v_mul_f32_e32 v105, v20, v105                              // 000000005AC4: 0AD2D314
	v_mul_f32_e32 v106, v20, v106                              // 000000005AC8: 0AD4D514
	v_mul_f32_e32 v107, v20, v107                              // 000000005ACC: 0AD6D714
	v_mul_f32_e32 v108, v20, v108                              // 000000005AD0: 0AD8D914
	v_mul_f32_e32 v109, v20, v109                              // 000000005AD4: 0ADADB14
	v_mfma_f32_32x32x8_bf16 v[64:79], v[204:205], v[172:173], v[64:79]// 000000005AD8: D3E00040 050359CC
	v_mul_f32_e32 v110, v20, v110                              // 000000005AE0: 0ADCDD14
	v_mul_f32_e32 v111, v20, v111                              // 000000005AE4: 0ADEDF14
	v_mul_f32_e32 v112, v20, v112                              // 000000005AE8: 0AE0E114
	v_mul_f32_e32 v113, v20, v113                              // 000000005AEC: 0AE2E314
	v_mul_f32_e32 v114, v20, v114                              // 000000005AF0: 0AE4E514
	v_mul_f32_e32 v115, v20, v115                              // 000000005AF4: 0AE6E714
	v_mul_f32_e32 v116, v20, v116                              // 000000005AF8: 0AE8E914
	v_mfma_f32_32x32x8_bf16 v[64:79], v[206:207], v[174:175], v[64:79]// 000000005AFC: D3E00040 05035DCE
	v_mul_f32_e32 v117, v20, v117                              // 000000005B04: 0AEAEB14
	v_mul_f32_e32 v118, v20, v118                              // 000000005B08: 0AECED14
	v_mul_f32_e32 v119, v20, v119                              // 000000005B0C: 0AEEEF14
	v_mul_f32_e32 v120, v20, v120                              // 000000005B10: 0AF0F114
	v_mul_f32_e32 v121, v20, v121                              // 000000005B14: 0AF2F314
	v_mul_f32_e32 v122, v20, v122                              // 000000005B18: 0AF4F514
	v_mul_f32_e32 v123, v20, v123                              // 000000005B1C: 0AF6F714
	v_mfma_f32_32x32x8_bf16 v[64:79], v[208:209], v[176:177], v[64:79]// 000000005B20: D3E00040 050361D0
	v_mul_f32_e32 v124, v20, v124                              // 000000005B28: 0AF8F914
	v_mul_f32_e32 v125, v20, v125                              // 000000005B2C: 0AFAFB14
	v_mul_f32_e32 v126, v20, v126                              // 000000005B30: 0AFCFD14
	v_mul_f32_e32 v127, v20, v127                              // 000000005B34: 0AFEFF14
	v_mul_f32_e32 v128, v20, v128                              // 000000005B38: 0B010114
	v_mul_f32_e32 v129, v20, v129                              // 000000005B3C: 0B030314
	v_mul_f32_e32 v130, v20, v130                              // 000000005B40: 0B050514
	v_mfma_f32_32x32x8_bf16 v[64:79], v[210:211], v[178:179], v[64:79]// 000000005B44: D3E00040 050365D2
	v_mul_f32_e32 v131, v20, v131                              // 000000005B4C: 0B070714
	v_mul_f32_e32 v132, v20, v132                              // 000000005B50: 0B090914
	v_mul_f32_e32 v133, v20, v133                              // 000000005B54: 0B0B0B14
	v_mul_f32_e32 v134, v20, v134                              // 000000005B58: 0B0D0D14
	v_mul_f32_e32 v135, v20, v135                              // 000000005B5C: 0B0F0F14
	v_mul_f32_e32 v136, v20, v136                              // 000000005B60: 0B111114
	v_mul_f32_e32 v137, v20, v137                              // 000000005B64: 0B131314
	v_mfma_f32_32x32x8_bf16 v[64:79], v[212:213], v[180:181], v[64:79]// 000000005B68: D3E00040 050369D4
	v_mul_f32_e32 v138, v20, v138                              // 000000005B70: 0B151514
	v_mul_f32_e32 v139, v20, v139                              // 000000005B74: 0B171714
	v_mul_f32_e32 v140, v20, v140                              // 000000005B78: 0B191914
	v_mul_f32_e32 v141, v20, v141                              // 000000005B7C: 0B1B1B14
	v_mul_f32_e32 v142, v20, v142                              // 000000005B80: 0B1D1D14
	v_mul_f32_e32 v143, v20, v143                              // 000000005B84: 0B1F1F14
	v_mul_f32_e32 v144, v20, v144                              // 000000005B88: 0B212114
	v_mfma_f32_32x32x8_bf16 v[64:79], v[214:215], v[182:183], v[64:79]// 000000005B8C: D3E00040 05036DD6
	v_mul_f32_e32 v145, v20, v145                              // 000000005B94: 0B232314
	v_mul_f32_e32 v146, v20, v146                              // 000000005B98: 0B252514
	v_mul_f32_e32 v147, v20, v147                              // 000000005B9C: 0B272714
	v_mul_f32_e32 v148, v20, v148                              // 000000005BA0: 0B292914
	v_mul_f32_e32 v149, v20, v149                              // 000000005BA4: 0B2B2B14
	v_mul_f32_e32 v150, v20, v150                              // 000000005BA8: 0B2D2D14
	v_mul_f32_e32 v151, v20, v151                              // 000000005BAC: 0B2F2F14
	v_mfma_f32_32x32x8_bf16 v[64:79], v[216:217], v[184:185], v[64:79]// 000000005BB0: D3E00040 050371D8
	v_mul_f32_e32 v152, v20, v152                              // 000000005BB8: 0B313114
	v_mul_f32_e32 v153, v20, v153                              // 000000005BBC: 0B333314
	v_mul_f32_e32 v154, v20, v154                              // 000000005BC0: 0B353514
	v_mul_f32_e32 v155, v20, v155                              // 000000005BC4: 0B373714
	v_mul_f32_e32 v156, v20, v156                              // 000000005BC8: 0B393914
	v_mul_f32_e32 v157, v20, v157                              // 000000005BCC: 0B3B3B14
	v_mul_f32_e32 v158, v20, v158                              // 000000005BD0: 0B3D3D14
	v_mfma_f32_32x32x8_bf16 v[64:79], v[218:219], v[186:187], v[64:79]// 000000005BD4: D3E00040 050375DA
	v_mul_f32_e32 v159, v20, v159                              // 000000005BDC: 0B3F3F14
	v_cmp_u_f32_e64 s[70:71], v80, v80                         // 000000005BE0: D0480046 0002A150
	v_add3_u32 v40, v80, v43, 1                                // 000000005BE8: D1FF0028 02065750
	v_cndmask_b32_e64 v16, v40, v42, s[70:71]                  // 000000005BF0: D1000010 011A5528
	v_cmp_u_f32_e64 s[70:71], v81, v81                         // 000000005BF8: D0480046 0002A351
	v_add3_u32 v40, v81, v43, 1                                // 000000005C00: D1FF0028 02065751
	v_cndmask_b32_e64 v17, v40, v42, s[70:71]                  // 000000005C08: D1000011 011A5528
	v_perm_b32 v80, v17, v16, s49                              // 000000005C10: D1ED0050 00C62111
	v_cmp_u_f32_e64 s[70:71], v82, v82                         // 000000005C18: D0480046 0002A552
	v_add3_u32 v40, v82, v43, 1                                // 000000005C20: D1FF0028 02065752
	v_cndmask_b32_e64 v16, v40, v42, s[70:71]                  // 000000005C28: D1000010 011A5528
	v_cmp_u_f32_e64 s[70:71], v83, v83                         // 000000005C30: D0480046 0002A753
	v_add3_u32 v40, v83, v43, 1                                // 000000005C38: D1FF0028 02065753
	v_cndmask_b32_e64 v17, v40, v42, s[70:71]                  // 000000005C40: D1000011 011A5528
	v_perm_b32 v81, v17, v16, s49                              // 000000005C48: D1ED0051 00C62111
	v_cmp_u_f32_e64 s[70:71], v84, v84                         // 000000005C50: D0480046 0002A954
	v_add3_u32 v40, v84, v43, 1                                // 000000005C58: D1FF0028 02065754
	v_cndmask_b32_e64 v16, v40, v42, s[70:71]                  // 000000005C60: D1000010 011A5528
	v_cmp_u_f32_e64 s[70:71], v85, v85                         // 000000005C68: D0480046 0002AB55
	v_add3_u32 v40, v85, v43, 1                                // 000000005C70: D1FF0028 02065755
	v_cndmask_b32_e64 v17, v40, v42, s[70:71]                  // 000000005C78: D1000011 011A5528
	v_perm_b32 v82, v17, v16, s49                              // 000000005C80: D1ED0052 00C62111
	v_cmp_u_f32_e64 s[70:71], v86, v86                         // 000000005C88: D0480046 0002AD56
	v_add3_u32 v40, v86, v43, 1                                // 000000005C90: D1FF0028 02065756
	v_cndmask_b32_e64 v16, v40, v42, s[70:71]                  // 000000005C98: D1000010 011A5528
	v_cmp_u_f32_e64 s[70:71], v87, v87                         // 000000005CA0: D0480046 0002AF57
	v_add3_u32 v40, v87, v43, 1                                // 000000005CA8: D1FF0028 02065757
	v_cndmask_b32_e64 v17, v40, v42, s[70:71]                  // 000000005CB0: D1000011 011A5528
	v_perm_b32 v83, v17, v16, s49                              // 000000005CB8: D1ED0053 00C62111
	v_cmp_u_f32_e64 s[70:71], v88, v88                         // 000000005CC0: D0480046 0002B158
	v_add3_u32 v40, v88, v43, 1                                // 000000005CC8: D1FF0028 02065758
	v_cndmask_b32_e64 v16, v40, v42, s[70:71]                  // 000000005CD0: D1000010 011A5528
	v_cmp_u_f32_e64 s[70:71], v89, v89                         // 000000005CD8: D0480046 0002B359
	v_add3_u32 v40, v89, v43, 1                                // 000000005CE0: D1FF0028 02065759
	v_cndmask_b32_e64 v17, v40, v42, s[70:71]                  // 000000005CE8: D1000011 011A5528
	v_perm_b32 v84, v17, v16, s49                              // 000000005CF0: D1ED0054 00C62111
	v_cmp_u_f32_e64 s[70:71], v90, v90                         // 000000005CF8: D0480046 0002B55A
	v_add3_u32 v40, v90, v43, 1                                // 000000005D00: D1FF0028 0206575A
	v_cndmask_b32_e64 v16, v40, v42, s[70:71]                  // 000000005D08: D1000010 011A5528
	v_cmp_u_f32_e64 s[70:71], v91, v91                         // 000000005D10: D0480046 0002B75B
	v_add3_u32 v40, v91, v43, 1                                // 000000005D18: D1FF0028 0206575B
	v_cndmask_b32_e64 v17, v40, v42, s[70:71]                  // 000000005D20: D1000011 011A5528
	v_perm_b32 v85, v17, v16, s49                              // 000000005D28: D1ED0055 00C62111
	v_mfma_f32_32x32x8_bf16 v[64:79], v[220:221], v[188:189], v[64:79]// 000000005D30: D3E00040 050379DC
	v_cmp_u_f32_e64 s[70:71], v92, v92                         // 000000005D38: D0480046 0002B95C
	v_add3_u32 v40, v92, v43, 1                                // 000000005D40: D1FF0028 0206575C
	v_cndmask_b32_e64 v16, v40, v42, s[70:71]                  // 000000005D48: D1000010 011A5528
	v_cmp_u_f32_e64 s[70:71], v93, v93                         // 000000005D50: D0480046 0002BB5D
	v_add3_u32 v40, v93, v43, 1                                // 000000005D58: D1FF0028 0206575D
	v_cndmask_b32_e64 v17, v40, v42, s[70:71]                  // 000000005D60: D1000011 011A5528
	v_perm_b32 v86, v17, v16, s49                              // 000000005D68: D1ED0056 00C62111
	v_cmp_u_f32_e64 s[70:71], v94, v94                         // 000000005D70: D0480046 0002BD5E
	v_add3_u32 v40, v94, v43, 1                                // 000000005D78: D1FF0028 0206575E
	v_cndmask_b32_e64 v16, v40, v42, s[70:71]                  // 000000005D80: D1000010 011A5528
	v_cmp_u_f32_e64 s[70:71], v95, v95                         // 000000005D88: D0480046 0002BF5F
	v_add3_u32 v40, v95, v43, 1                                // 000000005D90: D1FF0028 0206575F
	v_cndmask_b32_e64 v17, v40, v42, s[70:71]                  // 000000005D98: D1000011 011A5528
	v_perm_b32 v87, v17, v16, s49                              // 000000005DA0: D1ED0057 00C62111
	v_mfma_f32_32x32x8_bf16 v[64:79], v[222:223], v[190:191], v[64:79]// 000000005DA8: D3E00040 05037DDE
	s_barrier                                                  // 000000005DB0: BF8A0000
	s_cmp_lt_i32 s52, s54                                      // 000000005DB4: BF043634
	s_cbranch_scc1 label_0AF2                                  // 000000005DB8: BF850043
	s_sub_i32 s40, s7, s52                                     // 000000005DBC: 81A83407
	v_sub_i32 v16, s40, v30                                    // 000000005DC0: D29D0010 00023C28
	v_cmp_lt_i32_e64 s[72:73], 0, v16                          // 000000005DC8: D0C10048 00022080
	v_cmp_lt_i32_e64 s[74:75], 1, v16                          // 000000005DD0: D0C1004A 00022081
	v_cndmask_b32_e64 v64, v31, v64, s[72:73]                  // 000000005DD8: D1000040 0122811F
	v_cndmask_b32_e64 v65, v31, v65, s[74:75]                  // 000000005DE0: D1000041 012A831F
	v_cmp_lt_i32_e64 s[72:73], 2, v16                          // 000000005DE8: D0C10048 00022082
	v_cmp_lt_i32_e64 s[74:75], 3, v16                          // 000000005DF0: D0C1004A 00022083
	v_cndmask_b32_e64 v66, v31, v66, s[72:73]                  // 000000005DF8: D1000042 0122851F
	v_cndmask_b32_e64 v67, v31, v67, s[74:75]                  // 000000005E00: D1000043 012A871F
	v_cmp_lt_i32_e64 s[72:73], 8, v16                          // 000000005E08: D0C10048 00022088
	v_cmp_lt_i32_e64 s[74:75], 9, v16                          // 000000005E10: D0C1004A 00022089
	v_cndmask_b32_e64 v68, v31, v68, s[72:73]                  // 000000005E18: D1000044 0122891F
	v_cndmask_b32_e64 v69, v31, v69, s[74:75]                  // 000000005E20: D1000045 012A8B1F
	v_cmp_lt_i32_e64 s[72:73], 10, v16                         // 000000005E28: D0C10048 0002208A
	v_cmp_lt_i32_e64 s[74:75], 11, v16                         // 000000005E30: D0C1004A 0002208B
	v_cndmask_b32_e64 v70, v31, v70, s[72:73]                  // 000000005E38: D1000046 01228D1F
	v_cndmask_b32_e64 v71, v31, v71, s[74:75]                  // 000000005E40: D1000047 012A8F1F
	v_cmp_lt_i32_e64 s[72:73], 16, v16                         // 000000005E48: D0C10048 00022090
	v_cmp_lt_i32_e64 s[74:75], 17, v16                         // 000000005E50: D0C1004A 00022091
	v_cndmask_b32_e64 v72, v31, v72, s[72:73]                  // 000000005E58: D1000048 0122911F
	v_cndmask_b32_e64 v73, v31, v73, s[74:75]                  // 000000005E60: D1000049 012A931F
	v_cmp_lt_i32_e64 s[72:73], 18, v16                         // 000000005E68: D0C10048 00022092
	v_cmp_lt_i32_e64 s[74:75], 19, v16                         // 000000005E70: D0C1004A 00022093
	v_cndmask_b32_e64 v74, v31, v74, s[72:73]                  // 000000005E78: D100004A 0122951F
	v_cndmask_b32_e64 v75, v31, v75, s[74:75]                  // 000000005E80: D100004B 012A971F
	v_cmp_lt_i32_e64 s[72:73], 24, v16                         // 000000005E88: D0C10048 00022098
	v_cmp_lt_i32_e64 s[74:75], 25, v16                         // 000000005E90: D0C1004A 00022099
	v_cndmask_b32_e64 v76, v31, v76, s[72:73]                  // 000000005E98: D100004C 0122991F
	v_cndmask_b32_e64 v77, v31, v77, s[74:75]                  // 000000005EA0: D100004D 012A9B1F
	v_cmp_lt_i32_e64 s[72:73], 26, v16                         // 000000005EA8: D0C10048 0002209A
	v_cmp_lt_i32_e64 s[74:75], 27, v16                         // 000000005EB0: D0C1004A 0002209B
	v_cndmask_b32_e64 v78, v31, v78, s[72:73]                  // 000000005EB8: D100004E 01229D1F
	v_cndmask_b32_e64 v79, v31, v79, s[74:75]                  // 000000005EC0: D100004F 012A9F1F

0000000000005ec8 <label_0AF2>:
	s_nop 0                                                    // 000000005EC8: BF800000
	s_nop 0                                                    // 000000005ECC: BF800000
	s_nop 14                                                   // 000000005ED0: BF80000E
	s_mov_b32 m0, s68                                          // 000000005ED4: BEFC0044
	ds_read_b64 v[192:193], v13 offset:17408                   // 000000005ED8: D8EC4400 C000000D
	ds_read_b64 v[194:195], v13 offset:18432                   // 000000005EE0: D8EC4800 C200000D
	ds_read_b64 v[196:197], v13 offset:19456                   // 000000005EE8: D8EC4C00 C400000D
	ds_read_b64 v[198:199], v13 offset:20480                   // 000000005EF0: D8EC5000 C600000D
	ds_read_b64 v[200:201], v13 offset:17536                   // 000000005EF8: D8EC4480 C800000D
	ds_read_b64 v[202:203], v13 offset:18560                   // 000000005F00: D8EC4880 CA00000D
	ds_read_b64 v[204:205], v13 offset:19584                   // 000000005F08: D8EC4C80 CC00000D
	ds_read_b64 v[206:207], v13 offset:20608                   // 000000005F10: D8EC5080 CE00000D
	s_nop 15                                                   // 000000005F18: BF80000F
	s_nop 15                                                   // 000000005F1C: BF80000F
	buffer_load_dword v4, s[12:15], s60 offen lds              // 000000005F20: E0511000 3C030004
	s_add_u32 m0, 0x880, m0                                    // 000000005F28: 807C7CFF 00000880
	ds_read_b64 v[208:209], v13 offset:17664                   // 000000005F30: D8EC4500 D000000D
	ds_read_b64 v[210:211], v13 offset:18688                   // 000000005F38: D8EC4900 D200000D
	ds_read_b64 v[212:213], v13 offset:19712                   // 000000005F40: D8EC4D00 D400000D
	ds_read_b64 v[214:215], v13 offset:20736                   // 000000005F48: D8EC5100 D600000D
	buffer_load_dword v5, s[12:15], s60 offen lds              // 000000005F50: E0511000 3C030005
	s_add_u32 m0, 0x880, m0                                    // 000000005F58: 807C7CFF 00000880
	ds_read_b64 v[216:217], v13 offset:17792                   // 000000005F60: D8EC4580 D800000D
	ds_read_b64 v[218:219], v13 offset:18816                   // 000000005F68: D8EC4980 DA00000D
	ds_read_b64 v[220:221], v13 offset:19840                   // 000000005F70: D8EC4D80 DC00000D
	ds_read_b64 v[222:223], v13 offset:20864                   // 000000005F78: D8EC5180 DE00000D
	buffer_load_dword v6, s[12:15], s60 offen lds              // 000000005F80: E0511000 3C030006
	s_add_u32 m0, 0x880, m0                                    // 000000005F88: 807C7CFF 00000880
	buffer_load_dword v7, s[12:15], s60 offen lds              // 000000005F90: E0511000 3C030007
	s_add_u32 m0, 0x880, m0                                    // 000000005F98: 807C7CFF 00000880
	s_add_i32 s60, s43, s60                                    // 000000005FA0: 813C3C2B
	s_add_u32 s40, 0x80, s39                                   // 000000005FA4: 802827FF 00000080
	s_cmp_lt_u32 s40, s38                                      // 000000005FAC: BF0A2628
	s_cselect_b32 s43, s43, 0                                  // 000000005FB0: 852B802B
	s_add_i32 s52, s52, s53                                    // 000000005FB4: 81343534
	s_addk_i32 s39, 0x20                                       // 000000005FB8: B7270020
	s_cmp_lt_i32 s39, s38                                      // 000000005FBC: BF042627
	s_waitcnt vmcnt(8) lgkmcnt(0)                              // 000000005FC0: BF8C0078
	s_barrier                                                  // 000000005FC4: BF8A0000
	v_mfma_f32_32x32x8_bf16 v[96:111], v[192:193], v[80:81], v[96:111]// 000000005FC8: D3E00060 0582A1C0
	v_max3_f32 v25, v64, v65, v28                              // 000000005FD0: D1D30019 04728340
	v_max3_f32 v25, v66, v67, v25                              // 000000005FD8: D1D30019 04668742
	v_max3_f32 v25, v68, v69, v25                              // 000000005FE0: D1D30019 04668B44
	v_max3_f32 v25, v70, v71, v25                              // 000000005FE8: D1D30019 04668F46
	v_max3_f32 v25, v72, v73, v25                              // 000000005FF0: D1D30019 04669348
	v_max3_f32 v25, v74, v75, v25                              // 000000005FF8: D1D30019 0466974A
	v_max3_f32 v25, v76, v77, v25                              // 000000006000: D1D30019 04669B4C
	v_mfma_f32_32x32x8_bf16 v[96:111], v[194:195], v[82:83], v[96:111]// 000000006008: D3E00060 0582A5C2
	v_max3_f32 v25, v78, v79, v25                              // 000000006010: D1D30019 04669F4E
	ds_permute_b32 v24, v32, v25                               // 000000006018: D87C0000 18001920
	v_mfma_f32_32x32x8_bf16 v[96:111], v[196:197], v[84:85], v[96:111]// 000000006020: D3E00060 0582A9C4
	v_nop                                                      // 000000006028: 7E000000
	s_nop 0                                                    // 00000000602C: BF800000
	v_mfma_f32_32x32x8_bf16 v[96:111], v[198:199], v[86:87], v[96:111]// 000000006030: D3E00060 0582ADC6
	v_nop                                                      // 000000006038: 7E000000
	v_mfma_f32_32x32x8_bf16 v[112:127], v[200:201], v[80:81], v[112:127]// 00000000603C: D3E00070 05C2A1C8
	s_waitcnt lgkmcnt(0)                                       // 000000006044: BF8CC07F
	v_max_f32_e32 v25, v24, v25                                // 000000006048: 16323318
	v_sub_f32_e32 v20, v28, v25                                // 00000000604C: 0428331C
	v_mov_b32_e32 v28, v25                                     // 000000006050: 7E380319
	v_mul_f32_e32 v27, s56, v25                                // 000000006054: 0A363238
	v_mul_f32_e32 v20, s56, v20                                // 000000006058: 0A282838
	v_mfma_f32_32x32x8_bf16 v[112:127], v[202:203], v[82:83], v[112:127]// 00000000605C: D3E00070 05C2A5CA
	v_exp_f32_e32 v20, v20                                     // 000000006064: 7E284114
	v_fma_f32 v64, v64, s56, -v27                              // 000000006068: D1CB0040 846C7140
	v_fma_f32 v65, v65, s56, -v27                              // 000000006070: D1CB0041 846C7141
	v_fma_f32 v66, v66, s56, -v27                              // 000000006078: D1CB0042 846C7142
	v_mfma_f32_32x32x8_bf16 v[112:127], v[204:205], v[84:85], v[112:127]// 000000006080: D3E00070 05C2A9CC
	v_fma_f32 v67, v67, s56, -v27                              // 000000006088: D1CB0043 846C7143
	v_fma_f32 v68, v68, s56, -v27                              // 000000006090: D1CB0044 846C7144
	v_fma_f32 v69, v69, s56, -v27                              // 000000006098: D1CB0045 846C7145
	v_fma_f32 v70, v70, s56, -v27                              // 0000000060A0: D1CB0046 846C7146
	v_fma_f32 v71, v71, s56, -v27                              // 0000000060A8: D1CB0047 846C7147
	v_fma_f32 v72, v72, s56, -v27                              // 0000000060B0: D1CB0048 846C7148
	v_fma_f32 v73, v73, s56, -v27                              // 0000000060B8: D1CB0049 846C7149
	v_mfma_f32_32x32x8_bf16 v[112:127], v[206:207], v[86:87], v[112:127]// 0000000060C0: D3E00070 05C2ADCE
	v_fma_f32 v74, v74, s56, -v27                              // 0000000060C8: D1CB004A 846C714A
	v_fma_f32 v75, v75, s56, -v27                              // 0000000060D0: D1CB004B 846C714B
	v_fma_f32 v76, v76, s56, -v27                              // 0000000060D8: D1CB004C 846C714C
	v_fma_f32 v77, v77, s56, -v27                              // 0000000060E0: D1CB004D 846C714D
	v_fma_f32 v78, v78, s56, -v27                              // 0000000060E8: D1CB004E 846C714E
	v_fma_f32 v79, v79, s56, -v27                              // 0000000060F0: D1CB004F 846C714F
	v_exp_f32_e32 v64, v64                                     // 0000000060F8: 7E804140
	v_mfma_f32_32x32x8_bf16 v[128:143], v[208:209], v[80:81], v[128:143]// 0000000060FC: D3E00080 0602A1D0
	v_exp_f32_e32 v65, v65                                     // 000000006104: 7E824141
	v_exp_f32_e32 v66, v66                                     // 000000006108: 7E844142
	v_mfma_f32_32x32x8_bf16 v[128:143], v[210:211], v[82:83], v[128:143]// 00000000610C: D3E00080 0602A5D2
	v_exp_f32_e32 v67, v67                                     // 000000006114: 7E864143
	v_exp_f32_e32 v68, v68                                     // 000000006118: 7E884144
	v_mfma_f32_32x32x8_bf16 v[128:143], v[212:213], v[84:85], v[128:143]// 00000000611C: D3E00080 0602A9D4
	v_exp_f32_e32 v69, v69                                     // 000000006124: 7E8A4145
	v_exp_f32_e32 v70, v70                                     // 000000006128: 7E8C4146
	v_mfma_f32_32x32x8_bf16 v[128:143], v[214:215], v[86:87], v[128:143]// 00000000612C: D3E00080 0602ADD6
	v_exp_f32_e32 v71, v71                                     // 000000006134: 7E8E4147
	v_exp_f32_e32 v72, v72                                     // 000000006138: 7E904148
	v_mfma_f32_32x32x8_bf16 v[144:159], v[216:217], v[80:81], v[144:159]// 00000000613C: D3E00090 0642A1D8
	v_exp_f32_e32 v73, v73                                     // 000000006144: 7E924149
	v_exp_f32_e32 v74, v74                                     // 000000006148: 7E94414A
	v_mfma_f32_32x32x8_bf16 v[144:159], v[218:219], v[82:83], v[144:159]// 00000000614C: D3E00090 0642A5DA
	v_exp_f32_e32 v75, v75                                     // 000000006154: 7E96414B
	v_exp_f32_e32 v76, v76                                     // 000000006158: 7E98414C
	v_mfma_f32_32x32x8_bf16 v[144:159], v[220:221], v[84:85], v[144:159]// 00000000615C: D3E00090 0642A9DC
	v_exp_f32_e32 v77, v77                                     // 000000006164: 7E9A414D
	v_exp_f32_e32 v78, v78                                     // 000000006168: 7E9C414E
	v_mfma_f32_32x32x8_bf16 v[144:159], v[222:223], v[86:87], v[144:159]// 00000000616C: D3E00090 0642ADDE
	v_nop                                                      // 000000006174: 7E000000
	s_cbranch_scc0 label_0BA0                                  // 000000006178: BF840001
	s_branch label_0797                                        // 00000000617C: BF82FBF7

0000000000006180 <label_0BA0>:
	s_add_u32 s40, s38, 31                                     // 000000006180: 80289F26
	s_lshr_b32 s40, s40, 5                                     // 000000006184: 8F288528
	s_and_b32 s40, 1, s40                                      // 000000006188: 86282881
	s_cmp_lt_i32 s40, 1                                        // 00000000618C: BF048128
	s_cbranch_scc0 label_0CB9                                  // 000000006190: BF840114
	s_waitcnt vmcnt(4)                                         // 000000006194: BF8C0F74
	s_barrier                                                  // 000000006198: BF8A0000
	v_perm_b32 v232, v229, v228, s50                           // 00000000619C: D1ED00E8 00CBC9E5
	v_perm_b32 v234, v229, v228, s49                           // 0000000061A4: D1ED00EA 00C7C9E5
	v_perm_b32 v233, v231, v230, s50                           // 0000000061AC: D1ED00E9 00CBCDE7
	v_perm_b32 v235, v231, v230, s49                           // 0000000061B4: D1ED00EB 00C7CDE7
	ds_write_b64 v14, v[232:233] offset:17408                  // 0000000061BC: D89A4400 0000E80E
	ds_write_b64 v14, v[234:235] offset:21568                  // 0000000061C4: D89A5440 0000EA0E
	s_waitcnt lgkmcnt(0)                                       // 0000000061CC: BF8CC07F
	s_barrier                                                  // 0000000061D0: BF8A0000
	ds_read_b64 v[192:193], v13 offset:17408                   // 0000000061D4: D8EC4400 C000000D
	ds_read_b64 v[194:195], v13 offset:18432                   // 0000000061DC: D8EC4800 C200000D
	ds_read_b64 v[196:197], v13 offset:19456                   // 0000000061E4: D8EC4C00 C400000D
	ds_read_b64 v[198:199], v13 offset:20480                   // 0000000061EC: D8EC5000 C600000D
	ds_read_b64 v[200:201], v13 offset:17536                   // 0000000061F4: D8EC4480 C800000D
	ds_read_b64 v[202:203], v13 offset:18560                   // 0000000061FC: D8EC4880 CA00000D
	ds_read_b64 v[204:205], v13 offset:19584                   // 000000006204: D8EC4C80 CC00000D
	ds_read_b64 v[206:207], v13 offset:20608                   // 00000000620C: D8EC5080 CE00000D
	ds_read_b64 v[208:209], v13 offset:17664                   // 000000006214: D8EC4500 D000000D
	ds_read_b64 v[210:211], v13 offset:18688                   // 00000000621C: D8EC4900 D200000D
	ds_read_b64 v[212:213], v13 offset:19712                   // 000000006224: D8EC4D00 D400000D
	ds_read_b64 v[214:215], v13 offset:20736                   // 00000000622C: D8EC5100 D600000D
	ds_read_b64 v[216:217], v13 offset:17792                   // 000000006234: D8EC4580 D800000D
	ds_read_b64 v[218:219], v13 offset:18816                   // 00000000623C: D8EC4980 DA00000D
	ds_read_b64 v[220:221], v13 offset:19840                   // 000000006244: D8EC4D80 DC00000D
	ds_read_b64 v[222:223], v13 offset:20864                   // 00000000624C: D8EC5180 DE00000D
	v_exp_f32_e32 v95, v95                                     // 000000006254: 7EBE415F
	v_mul_f32_e32 v22, v20, v22                                // 000000006258: 0A2C2D14
	v_add_f32_e32 v38, v81, v80                                // 00000000625C: 024CA151
	v_add_f32_e32 v38, v82, v38                                // 000000006260: 024C4D52
	v_add_f32_e32 v38, v83, v38                                // 000000006264: 024C4D53
	v_add_f32_e32 v38, v84, v38                                // 000000006268: 024C4D54
	v_add_f32_e32 v38, v85, v38                                // 00000000626C: 024C4D55
	v_add_f32_e32 v38, v86, v38                                // 000000006270: 024C4D56
	v_add_f32_e32 v38, v87, v38                                // 000000006274: 024C4D57
	v_add_f32_e32 v38, v88, v38                                // 000000006278: 024C4D58
	v_add_f32_e32 v38, v89, v38                                // 00000000627C: 024C4D59
	v_add_f32_e32 v38, v90, v38                                // 000000006280: 024C4D5A
	v_add_f32_e32 v38, v91, v38                                // 000000006284: 024C4D5B
	v_add_f32_e32 v38, v92, v38                                // 000000006288: 024C4D5C
	v_add_f32_e32 v38, v93, v38                                // 00000000628C: 024C4D5D
	v_add_f32_e32 v38, v94, v38                                // 000000006290: 024C4D5E
	v_add_f32_e32 v38, v95, v38                                // 000000006294: 024C4D5F
	v_add_f32_e32 v22, v38, v22                                // 000000006298: 022C2D26
	v_mul_f32_e32 v96, v20, v96                                // 00000000629C: 0AC0C114
	v_mul_f32_e32 v97, v20, v97                                // 0000000062A0: 0AC2C314
	v_mul_f32_e32 v98, v20, v98                                // 0000000062A4: 0AC4C514
	v_mul_f32_e32 v99, v20, v99                                // 0000000062A8: 0AC6C714
	v_mul_f32_e32 v100, v20, v100                              // 0000000062AC: 0AC8C914
	v_mul_f32_e32 v101, v20, v101                              // 0000000062B0: 0ACACB14
	v_mul_f32_e32 v102, v20, v102                              // 0000000062B4: 0ACCCD14
	v_mul_f32_e32 v103, v20, v103                              // 0000000062B8: 0ACECF14
	v_mul_f32_e32 v104, v20, v104                              // 0000000062BC: 0AD0D114
	v_mul_f32_e32 v105, v20, v105                              // 0000000062C0: 0AD2D314
	v_mul_f32_e32 v106, v20, v106                              // 0000000062C4: 0AD4D514
	v_mul_f32_e32 v107, v20, v107                              // 0000000062C8: 0AD6D714
	v_mul_f32_e32 v108, v20, v108                              // 0000000062CC: 0AD8D914
	v_mul_f32_e32 v109, v20, v109                              // 0000000062D0: 0ADADB14
	v_mul_f32_e32 v110, v20, v110                              // 0000000062D4: 0ADCDD14
	v_mul_f32_e32 v111, v20, v111                              // 0000000062D8: 0ADEDF14
	v_mul_f32_e32 v112, v20, v112                              // 0000000062DC: 0AE0E114
	v_mul_f32_e32 v113, v20, v113                              // 0000000062E0: 0AE2E314
	v_mul_f32_e32 v114, v20, v114                              // 0000000062E4: 0AE4E514
	v_mul_f32_e32 v115, v20, v115                              // 0000000062E8: 0AE6E714
	v_mul_f32_e32 v116, v20, v116                              // 0000000062EC: 0AE8E914
	v_mul_f32_e32 v117, v20, v117                              // 0000000062F0: 0AEAEB14
	v_mul_f32_e32 v118, v20, v118                              // 0000000062F4: 0AECED14
	v_mul_f32_e32 v119, v20, v119                              // 0000000062F8: 0AEEEF14
	v_mul_f32_e32 v120, v20, v120                              // 0000000062FC: 0AF0F114
	v_mul_f32_e32 v121, v20, v121                              // 000000006300: 0AF2F314
	v_mul_f32_e32 v122, v20, v122                              // 000000006304: 0AF4F514
	v_mul_f32_e32 v123, v20, v123                              // 000000006308: 0AF6F714
	v_mul_f32_e32 v124, v20, v124                              // 00000000630C: 0AF8F914
	v_mul_f32_e32 v125, v20, v125                              // 000000006310: 0AFAFB14
	v_mul_f32_e32 v126, v20, v126                              // 000000006314: 0AFCFD14
	v_mul_f32_e32 v127, v20, v127                              // 000000006318: 0AFEFF14
	v_mul_f32_e32 v128, v20, v128                              // 00000000631C: 0B010114
	v_mul_f32_e32 v129, v20, v129                              // 000000006320: 0B030314
	v_mul_f32_e32 v130, v20, v130                              // 000000006324: 0B050514
	v_mul_f32_e32 v131, v20, v131                              // 000000006328: 0B070714
	v_mul_f32_e32 v132, v20, v132                              // 00000000632C: 0B090914
	v_mul_f32_e32 v133, v20, v133                              // 000000006330: 0B0B0B14
	v_mul_f32_e32 v134, v20, v134                              // 000000006334: 0B0D0D14
	v_mul_f32_e32 v135, v20, v135                              // 000000006338: 0B0F0F14
	v_mul_f32_e32 v136, v20, v136                              // 00000000633C: 0B111114
	v_mul_f32_e32 v137, v20, v137                              // 000000006340: 0B131314
	v_mul_f32_e32 v138, v20, v138                              // 000000006344: 0B151514
	v_mul_f32_e32 v139, v20, v139                              // 000000006348: 0B171714
	v_mul_f32_e32 v140, v20, v140                              // 00000000634C: 0B191914
	v_mul_f32_e32 v141, v20, v141                              // 000000006350: 0B1B1B14
	v_mul_f32_e32 v142, v20, v142                              // 000000006354: 0B1D1D14
	v_mul_f32_e32 v143, v20, v143                              // 000000006358: 0B1F1F14
	v_mul_f32_e32 v144, v20, v144                              // 00000000635C: 0B212114
	v_mul_f32_e32 v145, v20, v145                              // 000000006360: 0B232314
	v_mul_f32_e32 v146, v20, v146                              // 000000006364: 0B252514
	v_mul_f32_e32 v147, v20, v147                              // 000000006368: 0B272714
	v_mul_f32_e32 v148, v20, v148                              // 00000000636C: 0B292914
	v_mul_f32_e32 v149, v20, v149                              // 000000006370: 0B2B2B14
	v_mul_f32_e32 v150, v20, v150                              // 000000006374: 0B2D2D14
	v_mul_f32_e32 v151, v20, v151                              // 000000006378: 0B2F2F14
	v_mul_f32_e32 v152, v20, v152                              // 00000000637C: 0B313114
	v_mul_f32_e32 v153, v20, v153                              // 000000006380: 0B333314
	v_mul_f32_e32 v154, v20, v154                              // 000000006384: 0B353514
	v_mul_f32_e32 v155, v20, v155                              // 000000006388: 0B373714
	v_mul_f32_e32 v156, v20, v156                              // 00000000638C: 0B393914
	v_mul_f32_e32 v157, v20, v157                              // 000000006390: 0B3B3B14
	v_mul_f32_e32 v158, v20, v158                              // 000000006394: 0B3D3D14
	v_mul_f32_e32 v159, v20, v159                              // 000000006398: 0B3F3F14
	v_cmp_u_f32_e64 s[70:71], v80, v80                         // 00000000639C: D0480046 0002A150
	v_add3_u32 v40, v80, v43, 1                                // 0000000063A4: D1FF0028 02065750
	v_cndmask_b32_e64 v16, v40, v42, s[70:71]                  // 0000000063AC: D1000010 011A5528
	v_cmp_u_f32_e64 s[70:71], v81, v81                         // 0000000063B4: D0480046 0002A351
	v_add3_u32 v40, v81, v43, 1                                // 0000000063BC: D1FF0028 02065751
	v_cndmask_b32_e64 v17, v40, v42, s[70:71]                  // 0000000063C4: D1000011 011A5528
	v_perm_b32 v80, v17, v16, s49                              // 0000000063CC: D1ED0050 00C62111
	v_cmp_u_f32_e64 s[70:71], v82, v82                         // 0000000063D4: D0480046 0002A552
	v_add3_u32 v40, v82, v43, 1                                // 0000000063DC: D1FF0028 02065752
	v_cndmask_b32_e64 v16, v40, v42, s[70:71]                  // 0000000063E4: D1000010 011A5528
	v_cmp_u_f32_e64 s[70:71], v83, v83                         // 0000000063EC: D0480046 0002A753
	v_add3_u32 v40, v83, v43, 1                                // 0000000063F4: D1FF0028 02065753
	v_cndmask_b32_e64 v17, v40, v42, s[70:71]                  // 0000000063FC: D1000011 011A5528
	v_perm_b32 v81, v17, v16, s49                              // 000000006404: D1ED0051 00C62111
	v_cmp_u_f32_e64 s[70:71], v84, v84                         // 00000000640C: D0480046 0002A954
	v_add3_u32 v40, v84, v43, 1                                // 000000006414: D1FF0028 02065754
	v_cndmask_b32_e64 v16, v40, v42, s[70:71]                  // 00000000641C: D1000010 011A5528
	v_cmp_u_f32_e64 s[70:71], v85, v85                         // 000000006424: D0480046 0002AB55
	v_add3_u32 v40, v85, v43, 1                                // 00000000642C: D1FF0028 02065755
	v_cndmask_b32_e64 v17, v40, v42, s[70:71]                  // 000000006434: D1000011 011A5528
	v_perm_b32 v82, v17, v16, s49                              // 00000000643C: D1ED0052 00C62111
	v_cmp_u_f32_e64 s[70:71], v86, v86                         // 000000006444: D0480046 0002AD56
	v_add3_u32 v40, v86, v43, 1                                // 00000000644C: D1FF0028 02065756
	v_cndmask_b32_e64 v16, v40, v42, s[70:71]                  // 000000006454: D1000010 011A5528
	v_cmp_u_f32_e64 s[70:71], v87, v87                         // 00000000645C: D0480046 0002AF57
	v_add3_u32 v40, v87, v43, 1                                // 000000006464: D1FF0028 02065757
	v_cndmask_b32_e64 v17, v40, v42, s[70:71]                  // 00000000646C: D1000011 011A5528
	v_perm_b32 v83, v17, v16, s49                              // 000000006474: D1ED0053 00C62111
	v_cmp_u_f32_e64 s[70:71], v88, v88                         // 00000000647C: D0480046 0002B158
	v_add3_u32 v40, v88, v43, 1                                // 000000006484: D1FF0028 02065758
	v_cndmask_b32_e64 v16, v40, v42, s[70:71]                  // 00000000648C: D1000010 011A5528
	v_cmp_u_f32_e64 s[70:71], v89, v89                         // 000000006494: D0480046 0002B359
	v_add3_u32 v40, v89, v43, 1                                // 00000000649C: D1FF0028 02065759
	v_cndmask_b32_e64 v17, v40, v42, s[70:71]                  // 0000000064A4: D1000011 011A5528
	v_perm_b32 v84, v17, v16, s49                              // 0000000064AC: D1ED0054 00C62111
	v_cmp_u_f32_e64 s[70:71], v90, v90                         // 0000000064B4: D0480046 0002B55A
	v_add3_u32 v40, v90, v43, 1                                // 0000000064BC: D1FF0028 0206575A
	v_cndmask_b32_e64 v16, v40, v42, s[70:71]                  // 0000000064C4: D1000010 011A5528
	v_cmp_u_f32_e64 s[70:71], v91, v91                         // 0000000064CC: D0480046 0002B75B
	v_add3_u32 v40, v91, v43, 1                                // 0000000064D4: D1FF0028 0206575B
	v_cndmask_b32_e64 v17, v40, v42, s[70:71]                  // 0000000064DC: D1000011 011A5528
	v_perm_b32 v85, v17, v16, s49                              // 0000000064E4: D1ED0055 00C62111
	v_cmp_u_f32_e64 s[70:71], v92, v92                         // 0000000064EC: D0480046 0002B95C
	v_add3_u32 v40, v92, v43, 1                                // 0000000064F4: D1FF0028 0206575C
	v_cndmask_b32_e64 v16, v40, v42, s[70:71]                  // 0000000064FC: D1000010 011A5528
	v_cmp_u_f32_e64 s[70:71], v93, v93                         // 000000006504: D0480046 0002BB5D
	v_add3_u32 v40, v93, v43, 1                                // 00000000650C: D1FF0028 0206575D
	v_cndmask_b32_e64 v17, v40, v42, s[70:71]                  // 000000006514: D1000011 011A5528
	v_perm_b32 v86, v17, v16, s49                              // 00000000651C: D1ED0056 00C62111
	v_cmp_u_f32_e64 s[70:71], v94, v94                         // 000000006524: D0480046 0002BD5E
	v_add3_u32 v40, v94, v43, 1                                // 00000000652C: D1FF0028 0206575E
	v_cndmask_b32_e64 v16, v40, v42, s[70:71]                  // 000000006534: D1000010 011A5528
	v_cmp_u_f32_e64 s[70:71], v95, v95                         // 00000000653C: D0480046 0002BF5F
	v_add3_u32 v40, v95, v43, 1                                // 000000006544: D1FF0028 0206575F
	v_cndmask_b32_e64 v17, v40, v42, s[70:71]                  // 00000000654C: D1000011 011A5528
	v_perm_b32 v87, v17, v16, s49                              // 000000006554: D1ED0057 00C62111
	s_waitcnt lgkmcnt(0)                                       // 00000000655C: BF8CC07F
	v_mfma_f32_32x32x8_bf16 v[96:111], v[192:193], v[80:81], v[96:111]// 000000006560: D3E00060 0582A1C0
	v_mfma_f32_32x32x8_bf16 v[96:111], v[194:195], v[82:83], v[96:111]// 000000006568: D3E00060 0582A5C2
	v_mfma_f32_32x32x8_bf16 v[96:111], v[196:197], v[84:85], v[96:111]// 000000006570: D3E00060 0582A9C4
	v_mfma_f32_32x32x8_bf16 v[96:111], v[198:199], v[86:87], v[96:111]// 000000006578: D3E00060 0582ADC6
	v_mfma_f32_32x32x8_bf16 v[112:127], v[200:201], v[80:81], v[112:127]// 000000006580: D3E00070 05C2A1C8
	v_mfma_f32_32x32x8_bf16 v[112:127], v[202:203], v[82:83], v[112:127]// 000000006588: D3E00070 05C2A5CA
	v_mfma_f32_32x32x8_bf16 v[112:127], v[204:205], v[84:85], v[112:127]// 000000006590: D3E00070 05C2A9CC
	v_mfma_f32_32x32x8_bf16 v[112:127], v[206:207], v[86:87], v[112:127]// 000000006598: D3E00070 05C2ADCE
	v_mfma_f32_32x32x8_bf16 v[128:143], v[208:209], v[80:81], v[128:143]// 0000000065A0: D3E00080 0602A1D0
	v_mfma_f32_32x32x8_bf16 v[128:143], v[210:211], v[82:83], v[128:143]// 0000000065A8: D3E00080 0602A5D2
	v_mfma_f32_32x32x8_bf16 v[128:143], v[212:213], v[84:85], v[128:143]// 0000000065B0: D3E00080 0602A9D4
	v_mfma_f32_32x32x8_bf16 v[128:143], v[214:215], v[86:87], v[128:143]// 0000000065B8: D3E00080 0602ADD6
	v_mfma_f32_32x32x8_bf16 v[144:159], v[216:217], v[80:81], v[144:159]// 0000000065C0: D3E00090 0642A1D8
	v_mfma_f32_32x32x8_bf16 v[144:159], v[218:219], v[82:83], v[144:159]// 0000000065C8: D3E00090 0642A5DA
	v_mfma_f32_32x32x8_bf16 v[144:159], v[220:221], v[84:85], v[144:159]// 0000000065D0: D3E00090 0642A9DC
	v_mfma_f32_32x32x8_bf16 v[144:159], v[222:223], v[86:87], v[144:159]// 0000000065D8: D3E00090 0642ADDE
	s_branch label_0DCC                                        // 0000000065E0: BF820113

00000000000065e4 <label_0CB9>:
	s_waitcnt vmcnt(4)                                         // 0000000065E4: BF8C0F74
	s_barrier                                                  // 0000000065E8: BF8A0000
	v_perm_b32 v232, v225, v224, s50                           // 0000000065EC: D1ED00E8 00CBC1E1
	v_perm_b32 v234, v225, v224, s49                           // 0000000065F4: D1ED00EA 00C7C1E1
	v_perm_b32 v233, v227, v226, s50                           // 0000000065FC: D1ED00E9 00CBC5E3
	v_perm_b32 v235, v227, v226, s49                           // 000000006604: D1ED00EB 00C7C5E3
	ds_write_b64 v14, v[232:233] offset:17408                  // 00000000660C: D89A4400 0000E80E
	ds_write_b64 v14, v[234:235] offset:21568                  // 000000006614: D89A5440 0000EA0E
	s_waitcnt lgkmcnt(0)                                       // 00000000661C: BF8CC07F
	s_barrier                                                  // 000000006620: BF8A0000
	ds_read_b64 v[192:193], v13 offset:17408                   // 000000006624: D8EC4400 C000000D
	ds_read_b64 v[194:195], v13 offset:18432                   // 00000000662C: D8EC4800 C200000D
	ds_read_b64 v[196:197], v13 offset:19456                   // 000000006634: D8EC4C00 C400000D
	ds_read_b64 v[198:199], v13 offset:20480                   // 00000000663C: D8EC5000 C600000D
	ds_read_b64 v[200:201], v13 offset:17536                   // 000000006644: D8EC4480 C800000D
	ds_read_b64 v[202:203], v13 offset:18560                   // 00000000664C: D8EC4880 CA00000D
	ds_read_b64 v[204:205], v13 offset:19584                   // 000000006654: D8EC4C80 CC00000D
	ds_read_b64 v[206:207], v13 offset:20608                   // 00000000665C: D8EC5080 CE00000D
	ds_read_b64 v[208:209], v13 offset:17664                   // 000000006664: D8EC4500 D000000D
	ds_read_b64 v[210:211], v13 offset:18688                   // 00000000666C: D8EC4900 D200000D
	ds_read_b64 v[212:213], v13 offset:19712                   // 000000006674: D8EC4D00 D400000D
	ds_read_b64 v[214:215], v13 offset:20736                   // 00000000667C: D8EC5100 D600000D
	ds_read_b64 v[216:217], v13 offset:17792                   // 000000006684: D8EC4580 D800000D
	ds_read_b64 v[218:219], v13 offset:18816                   // 00000000668C: D8EC4980 DA00000D
	ds_read_b64 v[220:221], v13 offset:19840                   // 000000006694: D8EC4D80 DC00000D
	ds_read_b64 v[222:223], v13 offset:20864                   // 00000000669C: D8EC5180 DE00000D
	v_exp_f32_e32 v79, v79                                     // 0000000066A4: 7E9E414F
	v_mul_f32_e32 v22, v20, v22                                // 0000000066A8: 0A2C2D14
	v_add_f32_e32 v38, v65, v64                                // 0000000066AC: 024C8141
	v_add_f32_e32 v38, v66, v38                                // 0000000066B0: 024C4D42
	v_add_f32_e32 v38, v67, v38                                // 0000000066B4: 024C4D43
	v_add_f32_e32 v38, v68, v38                                // 0000000066B8: 024C4D44
	v_add_f32_e32 v38, v69, v38                                // 0000000066BC: 024C4D45
	v_add_f32_e32 v38, v70, v38                                // 0000000066C0: 024C4D46
	v_add_f32_e32 v38, v71, v38                                // 0000000066C4: 024C4D47
	v_add_f32_e32 v38, v72, v38                                // 0000000066C8: 024C4D48
	v_add_f32_e32 v38, v73, v38                                // 0000000066CC: 024C4D49
	v_add_f32_e32 v38, v74, v38                                // 0000000066D0: 024C4D4A
	v_add_f32_e32 v38, v75, v38                                // 0000000066D4: 024C4D4B
	v_add_f32_e32 v38, v76, v38                                // 0000000066D8: 024C4D4C
	v_add_f32_e32 v38, v77, v38                                // 0000000066DC: 024C4D4D
	v_add_f32_e32 v38, v78, v38                                // 0000000066E0: 024C4D4E
	v_add_f32_e32 v38, v79, v38                                // 0000000066E4: 024C4D4F
	v_add_f32_e32 v22, v38, v22                                // 0000000066E8: 022C2D26
	v_mul_f32_e32 v96, v20, v96                                // 0000000066EC: 0AC0C114
	v_mul_f32_e32 v97, v20, v97                                // 0000000066F0: 0AC2C314
	v_mul_f32_e32 v98, v20, v98                                // 0000000066F4: 0AC4C514
	v_mul_f32_e32 v99, v20, v99                                // 0000000066F8: 0AC6C714
	v_mul_f32_e32 v100, v20, v100                              // 0000000066FC: 0AC8C914
	v_mul_f32_e32 v101, v20, v101                              // 000000006700: 0ACACB14
	v_mul_f32_e32 v102, v20, v102                              // 000000006704: 0ACCCD14
	v_mul_f32_e32 v103, v20, v103                              // 000000006708: 0ACECF14
	v_mul_f32_e32 v104, v20, v104                              // 00000000670C: 0AD0D114
	v_mul_f32_e32 v105, v20, v105                              // 000000006710: 0AD2D314
	v_mul_f32_e32 v106, v20, v106                              // 000000006714: 0AD4D514
	v_mul_f32_e32 v107, v20, v107                              // 000000006718: 0AD6D714
	v_mul_f32_e32 v108, v20, v108                              // 00000000671C: 0AD8D914
	v_mul_f32_e32 v109, v20, v109                              // 000000006720: 0ADADB14
	v_mul_f32_e32 v110, v20, v110                              // 000000006724: 0ADCDD14
	v_mul_f32_e32 v111, v20, v111                              // 000000006728: 0ADEDF14
	v_mul_f32_e32 v112, v20, v112                              // 00000000672C: 0AE0E114
	v_mul_f32_e32 v113, v20, v113                              // 000000006730: 0AE2E314
	v_mul_f32_e32 v114, v20, v114                              // 000000006734: 0AE4E514
	v_mul_f32_e32 v115, v20, v115                              // 000000006738: 0AE6E714
	v_mul_f32_e32 v116, v20, v116                              // 00000000673C: 0AE8E914
	v_mul_f32_e32 v117, v20, v117                              // 000000006740: 0AEAEB14
	v_mul_f32_e32 v118, v20, v118                              // 000000006744: 0AECED14
	v_mul_f32_e32 v119, v20, v119                              // 000000006748: 0AEEEF14
	v_mul_f32_e32 v120, v20, v120                              // 00000000674C: 0AF0F114
	v_mul_f32_e32 v121, v20, v121                              // 000000006750: 0AF2F314
	v_mul_f32_e32 v122, v20, v122                              // 000000006754: 0AF4F514
	v_mul_f32_e32 v123, v20, v123                              // 000000006758: 0AF6F714
	v_mul_f32_e32 v124, v20, v124                              // 00000000675C: 0AF8F914
	v_mul_f32_e32 v125, v20, v125                              // 000000006760: 0AFAFB14
	v_mul_f32_e32 v126, v20, v126                              // 000000006764: 0AFCFD14
	v_mul_f32_e32 v127, v20, v127                              // 000000006768: 0AFEFF14
	v_mul_f32_e32 v128, v20, v128                              // 00000000676C: 0B010114
	v_mul_f32_e32 v129, v20, v129                              // 000000006770: 0B030314
	v_mul_f32_e32 v130, v20, v130                              // 000000006774: 0B050514
	v_mul_f32_e32 v131, v20, v131                              // 000000006778: 0B070714
	v_mul_f32_e32 v132, v20, v132                              // 00000000677C: 0B090914
	v_mul_f32_e32 v133, v20, v133                              // 000000006780: 0B0B0B14
	v_mul_f32_e32 v134, v20, v134                              // 000000006784: 0B0D0D14
	v_mul_f32_e32 v135, v20, v135                              // 000000006788: 0B0F0F14
	v_mul_f32_e32 v136, v20, v136                              // 00000000678C: 0B111114
	v_mul_f32_e32 v137, v20, v137                              // 000000006790: 0B131314
	v_mul_f32_e32 v138, v20, v138                              // 000000006794: 0B151514
	v_mul_f32_e32 v139, v20, v139                              // 000000006798: 0B171714
	v_mul_f32_e32 v140, v20, v140                              // 00000000679C: 0B191914
	v_mul_f32_e32 v141, v20, v141                              // 0000000067A0: 0B1B1B14
	v_mul_f32_e32 v142, v20, v142                              // 0000000067A4: 0B1D1D14
	v_mul_f32_e32 v143, v20, v143                              // 0000000067A8: 0B1F1F14
	v_mul_f32_e32 v144, v20, v144                              // 0000000067AC: 0B212114
	v_mul_f32_e32 v145, v20, v145                              // 0000000067B0: 0B232314
	v_mul_f32_e32 v146, v20, v146                              // 0000000067B4: 0B252514
	v_mul_f32_e32 v147, v20, v147                              // 0000000067B8: 0B272714
	v_mul_f32_e32 v148, v20, v148                              // 0000000067BC: 0B292914
	v_mul_f32_e32 v149, v20, v149                              // 0000000067C0: 0B2B2B14
	v_mul_f32_e32 v150, v20, v150                              // 0000000067C4: 0B2D2D14
	v_mul_f32_e32 v151, v20, v151                              // 0000000067C8: 0B2F2F14
	v_mul_f32_e32 v152, v20, v152                              // 0000000067CC: 0B313114
	v_mul_f32_e32 v153, v20, v153                              // 0000000067D0: 0B333314
	v_mul_f32_e32 v154, v20, v154                              // 0000000067D4: 0B353514
	v_mul_f32_e32 v155, v20, v155                              // 0000000067D8: 0B373714
	v_mul_f32_e32 v156, v20, v156                              // 0000000067DC: 0B393914
	v_mul_f32_e32 v157, v20, v157                              // 0000000067E0: 0B3B3B14
	v_mul_f32_e32 v158, v20, v158                              // 0000000067E4: 0B3D3D14
	v_mul_f32_e32 v159, v20, v159                              // 0000000067E8: 0B3F3F14
	v_cmp_u_f32_e64 s[70:71], v64, v64                         // 0000000067EC: D0480046 00028140
	v_add3_u32 v40, v64, v43, 1                                // 0000000067F4: D1FF0028 02065740
	v_cndmask_b32_e64 v16, v40, v42, s[70:71]                  // 0000000067FC: D1000010 011A5528
	v_cmp_u_f32_e64 s[70:71], v65, v65                         // 000000006804: D0480046 00028341
	v_add3_u32 v40, v65, v43, 1                                // 00000000680C: D1FF0028 02065741
	v_cndmask_b32_e64 v17, v40, v42, s[70:71]                  // 000000006814: D1000011 011A5528
	v_perm_b32 v64, v17, v16, s49                              // 00000000681C: D1ED0040 00C62111
	v_cmp_u_f32_e64 s[70:71], v66, v66                         // 000000006824: D0480046 00028542
	v_add3_u32 v40, v66, v43, 1                                // 00000000682C: D1FF0028 02065742
	v_cndmask_b32_e64 v16, v40, v42, s[70:71]                  // 000000006834: D1000010 011A5528
	v_cmp_u_f32_e64 s[70:71], v67, v67                         // 00000000683C: D0480046 00028743
	v_add3_u32 v40, v67, v43, 1                                // 000000006844: D1FF0028 02065743
	v_cndmask_b32_e64 v17, v40, v42, s[70:71]                  // 00000000684C: D1000011 011A5528
	v_perm_b32 v65, v17, v16, s49                              // 000000006854: D1ED0041 00C62111
	v_cmp_u_f32_e64 s[70:71], v68, v68                         // 00000000685C: D0480046 00028944
	v_add3_u32 v40, v68, v43, 1                                // 000000006864: D1FF0028 02065744
	v_cndmask_b32_e64 v16, v40, v42, s[70:71]                  // 00000000686C: D1000010 011A5528
	v_cmp_u_f32_e64 s[70:71], v69, v69                         // 000000006874: D0480046 00028B45
	v_add3_u32 v40, v69, v43, 1                                // 00000000687C: D1FF0028 02065745
	v_cndmask_b32_e64 v17, v40, v42, s[70:71]                  // 000000006884: D1000011 011A5528
	v_perm_b32 v66, v17, v16, s49                              // 00000000688C: D1ED0042 00C62111
	v_cmp_u_f32_e64 s[70:71], v70, v70                         // 000000006894: D0480046 00028D46
	v_add3_u32 v40, v70, v43, 1                                // 00000000689C: D1FF0028 02065746
	v_cndmask_b32_e64 v16, v40, v42, s[70:71]                  // 0000000068A4: D1000010 011A5528
	v_cmp_u_f32_e64 s[70:71], v71, v71                         // 0000000068AC: D0480046 00028F47
	v_add3_u32 v40, v71, v43, 1                                // 0000000068B4: D1FF0028 02065747
	v_cndmask_b32_e64 v17, v40, v42, s[70:71]                  // 0000000068BC: D1000011 011A5528
	v_perm_b32 v67, v17, v16, s49                              // 0000000068C4: D1ED0043 00C62111
	v_cmp_u_f32_e64 s[70:71], v72, v72                         // 0000000068CC: D0480046 00029148
	v_add3_u32 v40, v72, v43, 1                                // 0000000068D4: D1FF0028 02065748
	v_cndmask_b32_e64 v16, v40, v42, s[70:71]                  // 0000000068DC: D1000010 011A5528
	v_cmp_u_f32_e64 s[70:71], v73, v73                         // 0000000068E4: D0480046 00029349
	v_add3_u32 v40, v73, v43, 1                                // 0000000068EC: D1FF0028 02065749
	v_cndmask_b32_e64 v17, v40, v42, s[70:71]                  // 0000000068F4: D1000011 011A5528
	v_perm_b32 v68, v17, v16, s49                              // 0000000068FC: D1ED0044 00C62111
	v_cmp_u_f32_e64 s[70:71], v74, v74                         // 000000006904: D0480046 0002954A
	v_add3_u32 v40, v74, v43, 1                                // 00000000690C: D1FF0028 0206574A
	v_cndmask_b32_e64 v16, v40, v42, s[70:71]                  // 000000006914: D1000010 011A5528
	v_cmp_u_f32_e64 s[70:71], v75, v75                         // 00000000691C: D0480046 0002974B
	v_add3_u32 v40, v75, v43, 1                                // 000000006924: D1FF0028 0206574B
	v_cndmask_b32_e64 v17, v40, v42, s[70:71]                  // 00000000692C: D1000011 011A5528
	v_perm_b32 v69, v17, v16, s49                              // 000000006934: D1ED0045 00C62111
	v_cmp_u_f32_e64 s[70:71], v76, v76                         // 00000000693C: D0480046 0002994C
	v_add3_u32 v40, v76, v43, 1                                // 000000006944: D1FF0028 0206574C
	v_cndmask_b32_e64 v16, v40, v42, s[70:71]                  // 00000000694C: D1000010 011A5528
	v_cmp_u_f32_e64 s[70:71], v77, v77                         // 000000006954: D0480046 00029B4D
	v_add3_u32 v40, v77, v43, 1                                // 00000000695C: D1FF0028 0206574D
	v_cndmask_b32_e64 v17, v40, v42, s[70:71]                  // 000000006964: D1000011 011A5528
	v_perm_b32 v70, v17, v16, s49                              // 00000000696C: D1ED0046 00C62111
	v_cmp_u_f32_e64 s[70:71], v78, v78                         // 000000006974: D0480046 00029D4E
	v_add3_u32 v40, v78, v43, 1                                // 00000000697C: D1FF0028 0206574E
	v_cndmask_b32_e64 v16, v40, v42, s[70:71]                  // 000000006984: D1000010 011A5528
	v_cmp_u_f32_e64 s[70:71], v79, v79                         // 00000000698C: D0480046 00029F4F
	v_add3_u32 v40, v79, v43, 1                                // 000000006994: D1FF0028 0206574F
	v_cndmask_b32_e64 v17, v40, v42, s[70:71]                  // 00000000699C: D1000011 011A5528
	v_perm_b32 v71, v17, v16, s49                              // 0000000069A4: D1ED0047 00C62111
	s_waitcnt lgkmcnt(0)                                       // 0000000069AC: BF8CC07F
	v_mfma_f32_32x32x8_bf16 v[96:111], v[192:193], v[64:65], v[96:111]// 0000000069B0: D3E00060 058281C0
	v_mfma_f32_32x32x8_bf16 v[96:111], v[194:195], v[66:67], v[96:111]// 0000000069B8: D3E00060 058285C2
	v_mfma_f32_32x32x8_bf16 v[96:111], v[196:197], v[68:69], v[96:111]// 0000000069C0: D3E00060 058289C4
	v_mfma_f32_32x32x8_bf16 v[96:111], v[198:199], v[70:71], v[96:111]// 0000000069C8: D3E00060 05828DC6
	v_mfma_f32_32x32x8_bf16 v[112:127], v[200:201], v[64:65], v[112:127]// 0000000069D0: D3E00070 05C281C8
	v_mfma_f32_32x32x8_bf16 v[112:127], v[202:203], v[66:67], v[112:127]// 0000000069D8: D3E00070 05C285CA
	v_mfma_f32_32x32x8_bf16 v[112:127], v[204:205], v[68:69], v[112:127]// 0000000069E0: D3E00070 05C289CC
	v_mfma_f32_32x32x8_bf16 v[112:127], v[206:207], v[70:71], v[112:127]// 0000000069E8: D3E00070 05C28DCE
	v_mfma_f32_32x32x8_bf16 v[128:143], v[208:209], v[64:65], v[128:143]// 0000000069F0: D3E00080 060281D0
	v_mfma_f32_32x32x8_bf16 v[128:143], v[210:211], v[66:67], v[128:143]// 0000000069F8: D3E00080 060285D2
	v_mfma_f32_32x32x8_bf16 v[128:143], v[212:213], v[68:69], v[128:143]// 000000006A00: D3E00080 060289D4
	v_mfma_f32_32x32x8_bf16 v[128:143], v[214:215], v[70:71], v[128:143]// 000000006A08: D3E00080 06028DD6
	v_mfma_f32_32x32x8_bf16 v[144:159], v[216:217], v[64:65], v[144:159]// 000000006A10: D3E00090 064281D8
	v_mfma_f32_32x32x8_bf16 v[144:159], v[218:219], v[66:67], v[144:159]// 000000006A18: D3E00090 064285DA
	v_mfma_f32_32x32x8_bf16 v[144:159], v[220:221], v[68:69], v[144:159]// 000000006A20: D3E00090 064289DC
	v_mfma_f32_32x32x8_bf16 v[144:159], v[222:223], v[70:71], v[144:159]// 000000006A28: D3E00090 06428DDE

0000000000006a30 <label_0DCC>:
	v_cvt_f32_u32_e32 v16, s62                                 // 000000006A30: 7E200C3E
	s_sub_i32 s40, 0, s62                                      // 000000006A34: 81A83E80
	v_rcp_iflag_f32_e32 v16, v16                               // 000000006A38: 7E204710
	s_nop 0                                                    // 000000006A3C: BF800000
	v_mul_f32_e32 v16, 0x4f7ffffe, v16                         // 000000006A40: 0A2020FF 4F7FFFFE
	v_cvt_u32_f32_e32 v16, v16                                 // 000000006A48: 7E200F10
	v_mul_lo_u32 v17, s40, v16                                 // 000000006A4C: D2850011 00022028
	v_mul_hi_u32 v17, v16, v17                                 // 000000006A54: D2860011 00022310
	v_add_u32_e32 v16, v16, v17                                // 000000006A5C: 68202310
	v_mul_hi_u32 v16, s63, v16                                 // 000000006A60: D2860010 0002203F
	v_mul_lo_u32 v17, v16, s62                                 // 000000006A68: D2850011 00007D10
	v_sub_u32_e32 v19, s63, v17                                // 000000006A70: 6A26223F
	v_add_u32_e32 v18, 1, v16                                  // 000000006A74: 68242081
	v_cmp_le_u32_e32 vcc, s62, v19                             // 000000006A78: 7D96263E
	v_subrev_u32_e32 v17, s62, v19                             // 000000006A7C: 6C22263E
	s_nop 0                                                    // 000000006A80: BF800000
	v_cndmask_b32_e32 v16, v16, v18, vcc                       // 000000006A84: 00202510
	v_cndmask_b32_e32 v19, v19, v17, vcc                       // 000000006A88: 00262313
	v_add_u32_e32 v17, 1, v16                                  // 000000006A8C: 68222081
	v_cmp_le_u32_e32 vcc, s62, v19                             // 000000006A90: 7D96263E
	s_nop 1                                                    // 000000006A94: BF800001
	v_cndmask_b32_e32 v19, v16, v17, vcc                       // 000000006A98: 00262310
	s_nop 3                                                    // 000000006A9C: BF800003
	v_readfirstlane_b32 s63, v19                               // 000000006AA0: 7E7E0513
	s_nop 3                                                    // 000000006AA4: BF800003
	s_mul_i32 s63, s63, s83                                    // 000000006AA8: 923F533F
	v_lshrrev_b32_e32 v16, 3, v0                               // 000000006AAC: 20200083
	v_mul_i32_i24_e32 v8, s83, v16                             // 000000006AB0: 0C102053
	v_and_b32_e32 v16, 7, v0                                   // 000000006AB4: 26200087
	v_mul_i32_i24_e32 v16, 16, v16                             // 000000006AB8: 0C202090
	v_add_u32_e32 v8, v16, v8                                  // 000000006ABC: 68101110
	s_mul_i32 s40, s5, s83                                     // 000000006AC0: 92285305
	s_mul_i32 s40, s40, 32                                     // 000000006AC4: 9228A028
	s_add_u32 s40, s63, s40                                    // 000000006AC8: 8028283F
	v_add_u32_e32 v8, s40, v8                                  // 000000006ACC: 68101028
	s_mul_i32 s40, s83, 8                                      // 000000006AD0: 92288853
	v_add_u32_e32 v9, s40, v8                                  // 000000006AD4: 68121028
	v_add_u32_e32 v10, s40, v9                                 // 000000006AD8: 68141228
	v_add_u32_e32 v11, s40, v10                                // 000000006ADC: 68161428
	s_mul_i32 s40, s2, 0x100                                   // 000000006AE0: 9228FF02 00000100
	v_and_b32_e32 v3, 31, v0                                   // 000000006AE8: 2606009F
	v_add_u32_e32 v3, s40, v3                                  // 000000006AEC: 68060628
	s_mul_i32 s40, s5, 32                                      // 000000006AF0: 9228A005
	v_add_u32_e32 v3, s40, v3                                  // 000000006AF4: 68060628
	v_lshlrev_b32_e32 v3, 2, v3                                // 000000006AF8: 24060682
	ds_permute_b32 v16, v32, v22                               // 000000006AFC: D87C0000 10001620
	s_waitcnt lgkmcnt(0)                                       // 000000006B04: BF8CC07F
	v_add_f32_e32 v22, v16, v22                                // 000000006B08: 022C2D10
	v_mul_f32_e64 v16, v28, s28                                // 000000006B0C: D1050010 0000391C
	v_log_f32_e32 v17, v22                                     // 000000006B14: 7E224316
	v_cmp_eq_f32_e64 s[40:41], v22, 0                          // 000000006B18: D0420028 00010116
	s_nop 1                                                    // 000000006B20: BF800001
	v_rcp_f32_e32 v22, v22                                     // 000000006B24: 7E2C4516
	s_nop 1                                                    // 000000006B28: BF800001
	v_cndmask_b32_e64 v22, v22, 0, s[40:41]                    // 000000006B2C: D1000016 00A10116
	v_fma_f32 v2, v17, s45, v16                                // 000000006B34: D1CB0002 04405B11
	v_mov_b32_e32 v23, v22                                     // 000000006B3C: 7E2E0316
	v_lshrrev_b32_e32 v16, 5, v0                               // 000000006B40: 20200085
	v_mul_i32_i24_e32 v35, 0x42, v16                           // 000000006B44: 0C4620FF 00000042
	v_and_b32_e32 v16, 31, v0                                  // 000000006B4C: 2620009F
	v_mul_i32_i24_e32 v16, 2, v16                              // 000000006B50: 0C202082
	v_add_u32_e32 v35, v16, v35                                // 000000006B54: 68464710
	s_mul_i32 s40, s5, 0x420                                   // 000000006B58: 9228FF05 00000420
	v_add_u32_e32 v35, s40, v35                                // 000000006B60: 68464628
	v_lshlrev_b32_e32 v35, 2, v35                              // 000000006B64: 24464682
	v_lshrrev_b32_e32 v16, 3, v0                               // 000000006B68: 20200083
	v_mul_i32_i24_e32 v34, 2, v16                              // 000000006B6C: 0C442082
	v_and_b32_e32 v16, 7, v0                                   // 000000006B70: 26200087
	v_mul_i32_i24_e32 v16, 0x84, v16                           // 000000006B74: 0C2020FF 00000084
	v_add_u32_e32 v34, v16, v34                                // 000000006B7C: 68444510
	s_mul_i32 s40, s5, 0x420                                   // 000000006B80: 9228FF05 00000420
	v_add_u32_e32 v34, s40, v34                                // 000000006B88: 68444428
	v_lshlrev_b32_e32 v34, 2, v34                              // 000000006B8C: 24444482
	s_waitcnt vmcnt(0) expcnt(0) lgkmcnt(0)                    // 000000006B90: BF8C0000
	s_barrier                                                  // 000000006B94: BF8A0000
	v_pk_mul_f32 v[96:97], v[22:23], v[96:97]                  // 000000006B98: D3B14060 1802C116
	v_pk_mul_f32 v[98:99], v[22:23], v[98:99]                  // 000000006BA0: D3B14062 1802C516
	v_pk_mul_f32 v[100:101], v[22:23], v[100:101]              // 000000006BA8: D3B14064 1802C916
	v_pk_mul_f32 v[102:103], v[22:23], v[102:103]              // 000000006BB0: D3B14066 1802CD16
	v_pk_mul_f32 v[104:105], v[22:23], v[104:105]              // 000000006BB8: D3B14068 1802D116
	v_pk_mul_f32 v[106:107], v[22:23], v[106:107]              // 000000006BC0: D3B1406A 1802D516
	v_pk_mul_f32 v[108:109], v[22:23], v[108:109]              // 000000006BC8: D3B1406C 1802D916
	v_pk_mul_f32 v[110:111], v[22:23], v[110:111]              // 000000006BD0: D3B1406E 1802DD16
	v_pk_mul_f32 v[112:113], v[22:23], v[112:113]              // 000000006BD8: D3B14070 1802E116
	v_pk_mul_f32 v[114:115], v[22:23], v[114:115]              // 000000006BE0: D3B14072 1802E516
	v_pk_mul_f32 v[116:117], v[22:23], v[116:117]              // 000000006BE8: D3B14074 1802E916
	v_pk_mul_f32 v[118:119], v[22:23], v[118:119]              // 000000006BF0: D3B14076 1802ED16
	v_pk_mul_f32 v[120:121], v[22:23], v[120:121]              // 000000006BF8: D3B14078 1802F116
	v_pk_mul_f32 v[122:123], v[22:23], v[122:123]              // 000000006C00: D3B1407A 1802F516
	v_pk_mul_f32 v[124:125], v[22:23], v[124:125]              // 000000006C08: D3B1407C 1802F916
	v_pk_mul_f32 v[126:127], v[22:23], v[126:127]              // 000000006C10: D3B1407E 1802FD16
	v_cmp_u_f32_e64 s[70:71], v96, v96                         // 000000006C18: D0480046 0002C160
	v_add3_u32 v40, v96, v43, 1                                // 000000006C20: D1FF0028 02065760
	v_cndmask_b32_e64 v16, v40, v42, s[70:71]                  // 000000006C28: D1000010 011A5528
	v_cmp_u_f32_e64 s[70:71], v97, v97                         // 000000006C30: D0480046 0002C361
	v_add3_u32 v40, v97, v43, 1                                // 000000006C38: D1FF0028 02065761
	v_cndmask_b32_e64 v17, v40, v42, s[70:71]                  // 000000006C40: D1000011 011A5528
	v_perm_b32 v96, v17, v16, s49                              // 000000006C48: D1ED0060 00C62111
	v_cmp_u_f32_e64 s[70:71], v98, v98                         // 000000006C50: D0480046 0002C562
	v_add3_u32 v40, v98, v43, 1                                // 000000006C58: D1FF0028 02065762
	v_cndmask_b32_e64 v16, v40, v42, s[70:71]                  // 000000006C60: D1000010 011A5528
	v_cmp_u_f32_e64 s[70:71], v99, v99                         // 000000006C68: D0480046 0002C763
	v_add3_u32 v40, v99, v43, 1                                // 000000006C70: D1FF0028 02065763
	v_cndmask_b32_e64 v17, v40, v42, s[70:71]                  // 000000006C78: D1000011 011A5528
	v_perm_b32 v97, v17, v16, s49                              // 000000006C80: D1ED0061 00C62111
	v_cmp_u_f32_e64 s[70:71], v100, v100                       // 000000006C88: D0480046 0002C964
	v_add3_u32 v40, v100, v43, 1                               // 000000006C90: D1FF0028 02065764
	v_cndmask_b32_e64 v16, v40, v42, s[70:71]                  // 000000006C98: D1000010 011A5528
	v_cmp_u_f32_e64 s[70:71], v101, v101                       // 000000006CA0: D0480046 0002CB65
	v_add3_u32 v40, v101, v43, 1                               // 000000006CA8: D1FF0028 02065765
	v_cndmask_b32_e64 v17, v40, v42, s[70:71]                  // 000000006CB0: D1000011 011A5528
	v_perm_b32 v98, v17, v16, s49                              // 000000006CB8: D1ED0062 00C62111
	v_cmp_u_f32_e64 s[70:71], v102, v102                       // 000000006CC0: D0480046 0002CD66
	v_add3_u32 v40, v102, v43, 1                               // 000000006CC8: D1FF0028 02065766
	v_cndmask_b32_e64 v16, v40, v42, s[70:71]                  // 000000006CD0: D1000010 011A5528
	v_cmp_u_f32_e64 s[70:71], v103, v103                       // 000000006CD8: D0480046 0002CF67
	v_add3_u32 v40, v103, v43, 1                               // 000000006CE0: D1FF0028 02065767
	v_cndmask_b32_e64 v17, v40, v42, s[70:71]                  // 000000006CE8: D1000011 011A5528
	v_perm_b32 v99, v17, v16, s49                              // 000000006CF0: D1ED0063 00C62111
	v_cmp_u_f32_e64 s[70:71], v104, v104                       // 000000006CF8: D0480046 0002D168
	v_add3_u32 v40, v104, v43, 1                               // 000000006D00: D1FF0028 02065768
	v_cndmask_b32_e64 v16, v40, v42, s[70:71]                  // 000000006D08: D1000010 011A5528
	v_cmp_u_f32_e64 s[70:71], v105, v105                       // 000000006D10: D0480046 0002D369
	v_add3_u32 v40, v105, v43, 1                               // 000000006D18: D1FF0028 02065769
	v_cndmask_b32_e64 v17, v40, v42, s[70:71]                  // 000000006D20: D1000011 011A5528
	v_perm_b32 v100, v17, v16, s49                             // 000000006D28: D1ED0064 00C62111
	v_cmp_u_f32_e64 s[70:71], v106, v106                       // 000000006D30: D0480046 0002D56A
	v_add3_u32 v40, v106, v43, 1                               // 000000006D38: D1FF0028 0206576A
	v_cndmask_b32_e64 v16, v40, v42, s[70:71]                  // 000000006D40: D1000010 011A5528
	v_cmp_u_f32_e64 s[70:71], v107, v107                       // 000000006D48: D0480046 0002D76B
	v_add3_u32 v40, v107, v43, 1                               // 000000006D50: D1FF0028 0206576B
	v_cndmask_b32_e64 v17, v40, v42, s[70:71]                  // 000000006D58: D1000011 011A5528
	v_perm_b32 v101, v17, v16, s49                             // 000000006D60: D1ED0065 00C62111
	v_cmp_u_f32_e64 s[70:71], v108, v108                       // 000000006D68: D0480046 0002D96C
	v_add3_u32 v40, v108, v43, 1                               // 000000006D70: D1FF0028 0206576C
	v_cndmask_b32_e64 v16, v40, v42, s[70:71]                  // 000000006D78: D1000010 011A5528
	v_cmp_u_f32_e64 s[70:71], v109, v109                       // 000000006D80: D0480046 0002DB6D
	v_add3_u32 v40, v109, v43, 1                               // 000000006D88: D1FF0028 0206576D
	v_cndmask_b32_e64 v17, v40, v42, s[70:71]                  // 000000006D90: D1000011 011A5528
	v_perm_b32 v102, v17, v16, s49                             // 000000006D98: D1ED0066 00C62111
	v_cmp_u_f32_e64 s[70:71], v110, v110                       // 000000006DA0: D0480046 0002DD6E
	v_add3_u32 v40, v110, v43, 1                               // 000000006DA8: D1FF0028 0206576E
	v_cndmask_b32_e64 v16, v40, v42, s[70:71]                  // 000000006DB0: D1000010 011A5528
	v_cmp_u_f32_e64 s[70:71], v111, v111                       // 000000006DB8: D0480046 0002DF6F
	v_add3_u32 v40, v111, v43, 1                               // 000000006DC0: D1FF0028 0206576F
	v_cndmask_b32_e64 v17, v40, v42, s[70:71]                  // 000000006DC8: D1000011 011A5528
	v_perm_b32 v103, v17, v16, s49                             // 000000006DD0: D1ED0067 00C62111
	v_cmp_u_f32_e64 s[70:71], v112, v112                       // 000000006DD8: D0480046 0002E170
	v_add3_u32 v40, v112, v43, 1                               // 000000006DE0: D1FF0028 02065770
	v_cndmask_b32_e64 v16, v40, v42, s[70:71]                  // 000000006DE8: D1000010 011A5528
	v_cmp_u_f32_e64 s[70:71], v113, v113                       // 000000006DF0: D0480046 0002E371
	v_add3_u32 v40, v113, v43, 1                               // 000000006DF8: D1FF0028 02065771
	v_cndmask_b32_e64 v17, v40, v42, s[70:71]                  // 000000006E00: D1000011 011A5528
	v_perm_b32 v104, v17, v16, s49                             // 000000006E08: D1ED0068 00C62111
	v_cmp_u_f32_e64 s[70:71], v114, v114                       // 000000006E10: D0480046 0002E572
	v_add3_u32 v40, v114, v43, 1                               // 000000006E18: D1FF0028 02065772
	v_cndmask_b32_e64 v16, v40, v42, s[70:71]                  // 000000006E20: D1000010 011A5528
	v_cmp_u_f32_e64 s[70:71], v115, v115                       // 000000006E28: D0480046 0002E773
	v_add3_u32 v40, v115, v43, 1                               // 000000006E30: D1FF0028 02065773
	v_cndmask_b32_e64 v17, v40, v42, s[70:71]                  // 000000006E38: D1000011 011A5528
	v_perm_b32 v105, v17, v16, s49                             // 000000006E40: D1ED0069 00C62111
	v_cmp_u_f32_e64 s[70:71], v116, v116                       // 000000006E48: D0480046 0002E974
	v_add3_u32 v40, v116, v43, 1                               // 000000006E50: D1FF0028 02065774
	v_cndmask_b32_e64 v16, v40, v42, s[70:71]                  // 000000006E58: D1000010 011A5528
	v_cmp_u_f32_e64 s[70:71], v117, v117                       // 000000006E60: D0480046 0002EB75
	v_add3_u32 v40, v117, v43, 1                               // 000000006E68: D1FF0028 02065775
	v_cndmask_b32_e64 v17, v40, v42, s[70:71]                  // 000000006E70: D1000011 011A5528
	v_perm_b32 v106, v17, v16, s49                             // 000000006E78: D1ED006A 00C62111
	v_cmp_u_f32_e64 s[70:71], v118, v118                       // 000000006E80: D0480046 0002ED76
	v_add3_u32 v40, v118, v43, 1                               // 000000006E88: D1FF0028 02065776
	v_cndmask_b32_e64 v16, v40, v42, s[70:71]                  // 000000006E90: D1000010 011A5528
	v_cmp_u_f32_e64 s[70:71], v119, v119                       // 000000006E98: D0480046 0002EF77
	v_add3_u32 v40, v119, v43, 1                               // 000000006EA0: D1FF0028 02065777
	v_cndmask_b32_e64 v17, v40, v42, s[70:71]                  // 000000006EA8: D1000011 011A5528
	v_perm_b32 v107, v17, v16, s49                             // 000000006EB0: D1ED006B 00C62111
	v_cmp_u_f32_e64 s[70:71], v120, v120                       // 000000006EB8: D0480046 0002F178
	v_add3_u32 v40, v120, v43, 1                               // 000000006EC0: D1FF0028 02065778
	v_cndmask_b32_e64 v16, v40, v42, s[70:71]                  // 000000006EC8: D1000010 011A5528
	v_cmp_u_f32_e64 s[70:71], v121, v121                       // 000000006ED0: D0480046 0002F379
	v_add3_u32 v40, v121, v43, 1                               // 000000006ED8: D1FF0028 02065779
	v_cndmask_b32_e64 v17, v40, v42, s[70:71]                  // 000000006EE0: D1000011 011A5528
	v_perm_b32 v108, v17, v16, s49                             // 000000006EE8: D1ED006C 00C62111
	v_cmp_u_f32_e64 s[70:71], v122, v122                       // 000000006EF0: D0480046 0002F57A
	v_add3_u32 v40, v122, v43, 1                               // 000000006EF8: D1FF0028 0206577A
	v_cndmask_b32_e64 v16, v40, v42, s[70:71]                  // 000000006F00: D1000010 011A5528
	v_cmp_u_f32_e64 s[70:71], v123, v123                       // 000000006F08: D0480046 0002F77B
	v_add3_u32 v40, v123, v43, 1                               // 000000006F10: D1FF0028 0206577B
	v_cndmask_b32_e64 v17, v40, v42, s[70:71]                  // 000000006F18: D1000011 011A5528
	v_perm_b32 v109, v17, v16, s49                             // 000000006F20: D1ED006D 00C62111
	v_cmp_u_f32_e64 s[70:71], v124, v124                       // 000000006F28: D0480046 0002F97C
	v_add3_u32 v40, v124, v43, 1                               // 000000006F30: D1FF0028 0206577C
	v_cndmask_b32_e64 v16, v40, v42, s[70:71]                  // 000000006F38: D1000010 011A5528
	v_cmp_u_f32_e64 s[70:71], v125, v125                       // 000000006F40: D0480046 0002FB7D
	v_add3_u32 v40, v125, v43, 1                               // 000000006F48: D1FF0028 0206577D
	v_cndmask_b32_e64 v17, v40, v42, s[70:71]                  // 000000006F50: D1000011 011A5528
	v_perm_b32 v110, v17, v16, s49                             // 000000006F58: D1ED006E 00C62111
	v_cmp_u_f32_e64 s[70:71], v126, v126                       // 000000006F60: D0480046 0002FD7E
	v_add3_u32 v40, v126, v43, 1                               // 000000006F68: D1FF0028 0206577E
	v_cndmask_b32_e64 v16, v40, v42, s[70:71]                  // 000000006F70: D1000010 011A5528
	v_cmp_u_f32_e64 s[70:71], v127, v127                       // 000000006F78: D0480046 0002FF7F
	v_add3_u32 v40, v127, v43, 1                               // 000000006F80: D1FF0028 0206577F
	v_cndmask_b32_e64 v17, v40, v42, s[70:71]                  // 000000006F88: D1000011 011A5528
	v_perm_b32 v111, v17, v16, s49                             // 000000006F90: D1ED006F 00C62111
	ds_write_b64 v35, v[96:97]                                 // 000000006F98: D89A0000 00006023
	ds_write_b64 v35, v[98:99] offset:528                      // 000000006FA0: D89A0210 00006223
	ds_write_b64 v35, v[100:101] offset:1056                   // 000000006FA8: D89A0420 00006423
	ds_write_b64 v35, v[102:103] offset:1584                   // 000000006FB0: D89A0630 00006623
	ds_write_b64 v35, v[104:105] offset:2112                   // 000000006FB8: D89A0840 00006823
	ds_write_b64 v35, v[106:107] offset:2640                   // 000000006FC0: D89A0A50 00006A23
	ds_write_b64 v35, v[108:109] offset:3168                   // 000000006FC8: D89A0C60 00006C23
	ds_write_b64 v35, v[110:111] offset:3696                   // 000000006FD0: D89A0E70 00006E23
	s_waitcnt vmcnt(0) expcnt(0) lgkmcnt(0)                    // 000000006FD8: BF8C0000
	ds_read_b64 v[96:97], v34                                  // 000000006FDC: D8EC0000 60000022
	ds_read_b64 v[98:99], v34 offset:264                       // 000000006FE4: D8EC0108 62000022
	ds_read_b64 v[100:101], v34 offset:64                      // 000000006FEC: D8EC0040 64000022
	ds_read_b64 v[102:103], v34 offset:328                     // 000000006FF4: D8EC0148 66000022
	ds_read_b64 v[104:105], v34 offset:128                     // 000000006FFC: D8EC0080 68000022
	ds_read_b64 v[106:107], v34 offset:392                     // 000000007004: D8EC0188 6A000022
	ds_read_b64 v[108:109], v34 offset:192                     // 00000000700C: D8EC00C0 6C000022
	ds_read_b64 v[110:111], v34 offset:456                     // 000000007014: D8EC01C8 6E000022
	s_waitcnt vmcnt(0) expcnt(0) lgkmcnt(0)                    // 00000000701C: BF8C0000
	buffer_store_dwordx4 v[96:99], v8, s[20:23], 0 offen       // 000000007020: E07C1000 80056008
	buffer_store_dwordx4 v[100:103], v9, s[20:23], 0 offen     // 000000007028: E07C1000 80056409
	buffer_store_dwordx4 v[104:107], v10, s[20:23], 0 offen    // 000000007030: E07C1000 8005680A
	buffer_store_dwordx4 v[108:111], v11, s[20:23], 0 offen    // 000000007038: E07C1000 80056C0B
	v_pk_mul_f32 v[128:129], v[22:23], v[128:129]              // 000000007040: D3B14080 18030116
	v_pk_mul_f32 v[130:131], v[22:23], v[130:131]              // 000000007048: D3B14082 18030516
	v_pk_mul_f32 v[132:133], v[22:23], v[132:133]              // 000000007050: D3B14084 18030916
	v_pk_mul_f32 v[134:135], v[22:23], v[134:135]              // 000000007058: D3B14086 18030D16
	v_pk_mul_f32 v[136:137], v[22:23], v[136:137]              // 000000007060: D3B14088 18031116
	v_pk_mul_f32 v[138:139], v[22:23], v[138:139]              // 000000007068: D3B1408A 18031516
	v_pk_mul_f32 v[140:141], v[22:23], v[140:141]              // 000000007070: D3B1408C 18031916
	v_pk_mul_f32 v[142:143], v[22:23], v[142:143]              // 000000007078: D3B1408E 18031D16
	v_pk_mul_f32 v[144:145], v[22:23], v[144:145]              // 000000007080: D3B14090 18032116
	v_pk_mul_f32 v[146:147], v[22:23], v[146:147]              // 000000007088: D3B14092 18032516
	v_pk_mul_f32 v[148:149], v[22:23], v[148:149]              // 000000007090: D3B14094 18032916
	v_pk_mul_f32 v[150:151], v[22:23], v[150:151]              // 000000007098: D3B14096 18032D16
	v_pk_mul_f32 v[152:153], v[22:23], v[152:153]              // 0000000070A0: D3B14098 18033116
	v_pk_mul_f32 v[154:155], v[22:23], v[154:155]              // 0000000070A8: D3B1409A 18033516
	v_pk_mul_f32 v[156:157], v[22:23], v[156:157]              // 0000000070B0: D3B1409C 18033916
	v_pk_mul_f32 v[158:159], v[22:23], v[158:159]              // 0000000070B8: D3B1409E 18033D16
	v_cmp_u_f32_e64 s[70:71], v128, v128                       // 0000000070C0: D0480046 00030180
	v_add3_u32 v40, v128, v43, 1                               // 0000000070C8: D1FF0028 02065780
	v_cndmask_b32_e64 v16, v40, v42, s[70:71]                  // 0000000070D0: D1000010 011A5528
	v_cmp_u_f32_e64 s[70:71], v129, v129                       // 0000000070D8: D0480046 00030381
	v_add3_u32 v40, v129, v43, 1                               // 0000000070E0: D1FF0028 02065781
	v_cndmask_b32_e64 v17, v40, v42, s[70:71]                  // 0000000070E8: D1000011 011A5528
	v_perm_b32 v128, v17, v16, s49                             // 0000000070F0: D1ED0080 00C62111
	v_cmp_u_f32_e64 s[70:71], v130, v130                       // 0000000070F8: D0480046 00030582
	v_add3_u32 v40, v130, v43, 1                               // 000000007100: D1FF0028 02065782
	v_cndmask_b32_e64 v16, v40, v42, s[70:71]                  // 000000007108: D1000010 011A5528
	v_cmp_u_f32_e64 s[70:71], v131, v131                       // 000000007110: D0480046 00030783
	v_add3_u32 v40, v131, v43, 1                               // 000000007118: D1FF0028 02065783
	v_cndmask_b32_e64 v17, v40, v42, s[70:71]                  // 000000007120: D1000011 011A5528
	v_perm_b32 v129, v17, v16, s49                             // 000000007128: D1ED0081 00C62111
	v_cmp_u_f32_e64 s[70:71], v132, v132                       // 000000007130: D0480046 00030984
	v_add3_u32 v40, v132, v43, 1                               // 000000007138: D1FF0028 02065784
	v_cndmask_b32_e64 v16, v40, v42, s[70:71]                  // 000000007140: D1000010 011A5528
	v_cmp_u_f32_e64 s[70:71], v133, v133                       // 000000007148: D0480046 00030B85
	v_add3_u32 v40, v133, v43, 1                               // 000000007150: D1FF0028 02065785
	v_cndmask_b32_e64 v17, v40, v42, s[70:71]                  // 000000007158: D1000011 011A5528
	v_perm_b32 v130, v17, v16, s49                             // 000000007160: D1ED0082 00C62111
	v_cmp_u_f32_e64 s[70:71], v134, v134                       // 000000007168: D0480046 00030D86
	v_add3_u32 v40, v134, v43, 1                               // 000000007170: D1FF0028 02065786
	v_cndmask_b32_e64 v16, v40, v42, s[70:71]                  // 000000007178: D1000010 011A5528
	v_cmp_u_f32_e64 s[70:71], v135, v135                       // 000000007180: D0480046 00030F87
	v_add3_u32 v40, v135, v43, 1                               // 000000007188: D1FF0028 02065787
	v_cndmask_b32_e64 v17, v40, v42, s[70:71]                  // 000000007190: D1000011 011A5528
	v_perm_b32 v131, v17, v16, s49                             // 000000007198: D1ED0083 00C62111
	v_cmp_u_f32_e64 s[70:71], v136, v136                       // 0000000071A0: D0480046 00031188
	v_add3_u32 v40, v136, v43, 1                               // 0000000071A8: D1FF0028 02065788
	v_cndmask_b32_e64 v16, v40, v42, s[70:71]                  // 0000000071B0: D1000010 011A5528
	v_cmp_u_f32_e64 s[70:71], v137, v137                       // 0000000071B8: D0480046 00031389
	v_add3_u32 v40, v137, v43, 1                               // 0000000071C0: D1FF0028 02065789
	v_cndmask_b32_e64 v17, v40, v42, s[70:71]                  // 0000000071C8: D1000011 011A5528
	v_perm_b32 v132, v17, v16, s49                             // 0000000071D0: D1ED0084 00C62111
	v_cmp_u_f32_e64 s[70:71], v138, v138                       // 0000000071D8: D0480046 0003158A
	v_add3_u32 v40, v138, v43, 1                               // 0000000071E0: D1FF0028 0206578A
	v_cndmask_b32_e64 v16, v40, v42, s[70:71]                  // 0000000071E8: D1000010 011A5528
	v_cmp_u_f32_e64 s[70:71], v139, v139                       // 0000000071F0: D0480046 0003178B
	v_add3_u32 v40, v139, v43, 1                               // 0000000071F8: D1FF0028 0206578B
	v_cndmask_b32_e64 v17, v40, v42, s[70:71]                  // 000000007200: D1000011 011A5528
	v_perm_b32 v133, v17, v16, s49                             // 000000007208: D1ED0085 00C62111
	v_cmp_u_f32_e64 s[70:71], v140, v140                       // 000000007210: D0480046 0003198C
	v_add3_u32 v40, v140, v43, 1                               // 000000007218: D1FF0028 0206578C
	v_cndmask_b32_e64 v16, v40, v42, s[70:71]                  // 000000007220: D1000010 011A5528
	v_cmp_u_f32_e64 s[70:71], v141, v141                       // 000000007228: D0480046 00031B8D
	v_add3_u32 v40, v141, v43, 1                               // 000000007230: D1FF0028 0206578D
	v_cndmask_b32_e64 v17, v40, v42, s[70:71]                  // 000000007238: D1000011 011A5528
	v_perm_b32 v134, v17, v16, s49                             // 000000007240: D1ED0086 00C62111
	v_cmp_u_f32_e64 s[70:71], v142, v142                       // 000000007248: D0480046 00031D8E
	v_add3_u32 v40, v142, v43, 1                               // 000000007250: D1FF0028 0206578E
	v_cndmask_b32_e64 v16, v40, v42, s[70:71]                  // 000000007258: D1000010 011A5528
	v_cmp_u_f32_e64 s[70:71], v143, v143                       // 000000007260: D0480046 00031F8F
	v_add3_u32 v40, v143, v43, 1                               // 000000007268: D1FF0028 0206578F
	v_cndmask_b32_e64 v17, v40, v42, s[70:71]                  // 000000007270: D1000011 011A5528
	v_perm_b32 v135, v17, v16, s49                             // 000000007278: D1ED0087 00C62111
	v_cmp_u_f32_e64 s[70:71], v144, v144                       // 000000007280: D0480046 00032190
	v_add3_u32 v40, v144, v43, 1                               // 000000007288: D1FF0028 02065790
	v_cndmask_b32_e64 v16, v40, v42, s[70:71]                  // 000000007290: D1000010 011A5528
	v_cmp_u_f32_e64 s[70:71], v145, v145                       // 000000007298: D0480046 00032391
	v_add3_u32 v40, v145, v43, 1                               // 0000000072A0: D1FF0028 02065791
	v_cndmask_b32_e64 v17, v40, v42, s[70:71]                  // 0000000072A8: D1000011 011A5528
	v_perm_b32 v136, v17, v16, s49                             // 0000000072B0: D1ED0088 00C62111
	v_cmp_u_f32_e64 s[70:71], v146, v146                       // 0000000072B8: D0480046 00032592
	v_add3_u32 v40, v146, v43, 1                               // 0000000072C0: D1FF0028 02065792
	v_cndmask_b32_e64 v16, v40, v42, s[70:71]                  // 0000000072C8: D1000010 011A5528
	v_cmp_u_f32_e64 s[70:71], v147, v147                       // 0000000072D0: D0480046 00032793
	v_add3_u32 v40, v147, v43, 1                               // 0000000072D8: D1FF0028 02065793
	v_cndmask_b32_e64 v17, v40, v42, s[70:71]                  // 0000000072E0: D1000011 011A5528
	v_perm_b32 v137, v17, v16, s49                             // 0000000072E8: D1ED0089 00C62111
	v_cmp_u_f32_e64 s[70:71], v148, v148                       // 0000000072F0: D0480046 00032994
	v_add3_u32 v40, v148, v43, 1                               // 0000000072F8: D1FF0028 02065794
	v_cndmask_b32_e64 v16, v40, v42, s[70:71]                  // 000000007300: D1000010 011A5528
	v_cmp_u_f32_e64 s[70:71], v149, v149                       // 000000007308: D0480046 00032B95
	v_add3_u32 v40, v149, v43, 1                               // 000000007310: D1FF0028 02065795
	v_cndmask_b32_e64 v17, v40, v42, s[70:71]                  // 000000007318: D1000011 011A5528
	v_perm_b32 v138, v17, v16, s49                             // 000000007320: D1ED008A 00C62111
	v_cmp_u_f32_e64 s[70:71], v150, v150                       // 000000007328: D0480046 00032D96
	v_add3_u32 v40, v150, v43, 1                               // 000000007330: D1FF0028 02065796
	v_cndmask_b32_e64 v16, v40, v42, s[70:71]                  // 000000007338: D1000010 011A5528
	v_cmp_u_f32_e64 s[70:71], v151, v151                       // 000000007340: D0480046 00032F97
	v_add3_u32 v40, v151, v43, 1                               // 000000007348: D1FF0028 02065797
	v_cndmask_b32_e64 v17, v40, v42, s[70:71]                  // 000000007350: D1000011 011A5528
	v_perm_b32 v139, v17, v16, s49                             // 000000007358: D1ED008B 00C62111
	v_cmp_u_f32_e64 s[70:71], v152, v152                       // 000000007360: D0480046 00033198
	v_add3_u32 v40, v152, v43, 1                               // 000000007368: D1FF0028 02065798
	v_cndmask_b32_e64 v16, v40, v42, s[70:71]                  // 000000007370: D1000010 011A5528
	v_cmp_u_f32_e64 s[70:71], v153, v153                       // 000000007378: D0480046 00033399
	v_add3_u32 v40, v153, v43, 1                               // 000000007380: D1FF0028 02065799
	v_cndmask_b32_e64 v17, v40, v42, s[70:71]                  // 000000007388: D1000011 011A5528
	v_perm_b32 v140, v17, v16, s49                             // 000000007390: D1ED008C 00C62111
	v_cmp_u_f32_e64 s[70:71], v154, v154                       // 000000007398: D0480046 0003359A
	v_add3_u32 v40, v154, v43, 1                               // 0000000073A0: D1FF0028 0206579A
	v_cndmask_b32_e64 v16, v40, v42, s[70:71]                  // 0000000073A8: D1000010 011A5528
	v_cmp_u_f32_e64 s[70:71], v155, v155                       // 0000000073B0: D0480046 0003379B
	v_add3_u32 v40, v155, v43, 1                               // 0000000073B8: D1FF0028 0206579B
	v_cndmask_b32_e64 v17, v40, v42, s[70:71]                  // 0000000073C0: D1000011 011A5528
	v_perm_b32 v141, v17, v16, s49                             // 0000000073C8: D1ED008D 00C62111
	v_cmp_u_f32_e64 s[70:71], v156, v156                       // 0000000073D0: D0480046 0003399C
	v_add3_u32 v40, v156, v43, 1                               // 0000000073D8: D1FF0028 0206579C
	v_cndmask_b32_e64 v16, v40, v42, s[70:71]                  // 0000000073E0: D1000010 011A5528
	v_cmp_u_f32_e64 s[70:71], v157, v157                       // 0000000073E8: D0480046 00033B9D
	v_add3_u32 v40, v157, v43, 1                               // 0000000073F0: D1FF0028 0206579D
	v_cndmask_b32_e64 v17, v40, v42, s[70:71]                  // 0000000073F8: D1000011 011A5528
	v_perm_b32 v142, v17, v16, s49                             // 000000007400: D1ED008E 00C62111
	v_cmp_u_f32_e64 s[70:71], v158, v158                       // 000000007408: D0480046 00033D9E
	v_add3_u32 v40, v158, v43, 1                               // 000000007410: D1FF0028 0206579E
	v_cndmask_b32_e64 v16, v40, v42, s[70:71]                  // 000000007418: D1000010 011A5528
	v_cmp_u_f32_e64 s[70:71], v159, v159                       // 000000007420: D0480046 00033F9F
	v_add3_u32 v40, v159, v43, 1                               // 000000007428: D1FF0028 0206579F
	v_cndmask_b32_e64 v17, v40, v42, s[70:71]                  // 000000007430: D1000011 011A5528
	v_perm_b32 v143, v17, v16, s49                             // 000000007438: D1ED008F 00C62111
	ds_write_b64 v35, v[128:129]                               // 000000007440: D89A0000 00008023
	ds_write_b64 v35, v[130:131] offset:528                    // 000000007448: D89A0210 00008223
	ds_write_b64 v35, v[132:133] offset:1056                   // 000000007450: D89A0420 00008423
	ds_write_b64 v35, v[134:135] offset:1584                   // 000000007458: D89A0630 00008623
	ds_write_b64 v35, v[136:137] offset:2112                   // 000000007460: D89A0840 00008823
	ds_write_b64 v35, v[138:139] offset:2640                   // 000000007468: D89A0A50 00008A23
	ds_write_b64 v35, v[140:141] offset:3168                   // 000000007470: D89A0C60 00008C23
	ds_write_b64 v35, v[142:143] offset:3696                   // 000000007478: D89A0E70 00008E23
	s_waitcnt vmcnt(0) expcnt(0) lgkmcnt(0)                    // 000000007480: BF8C0000
	ds_read_b64 v[128:129], v34                                // 000000007484: D8EC0000 80000022
	ds_read_b64 v[130:131], v34 offset:264                     // 00000000748C: D8EC0108 82000022
	ds_read_b64 v[132:133], v34 offset:64                      // 000000007494: D8EC0040 84000022
	ds_read_b64 v[134:135], v34 offset:328                     // 00000000749C: D8EC0148 86000022
	ds_read_b64 v[136:137], v34 offset:128                     // 0000000074A4: D8EC0080 88000022
	ds_read_b64 v[138:139], v34 offset:392                     // 0000000074AC: D8EC0188 8A000022
	ds_read_b64 v[140:141], v34 offset:192                     // 0000000074B4: D8EC00C0 8C000022
	ds_read_b64 v[142:143], v34 offset:456                     // 0000000074BC: D8EC01C8 8E000022
	s_waitcnt vmcnt(0) expcnt(0) lgkmcnt(0)                    // 0000000074C4: BF8C0000
	buffer_store_dwordx4 v[128:131], v8, s[20:23], 0 offen offset:128// 0000000074C8: E07C1080 80058008
	buffer_store_dwordx4 v[132:135], v9, s[20:23], 0 offen offset:128// 0000000074D0: E07C1080 80058409
	buffer_store_dwordx4 v[136:139], v10, s[20:23], 0 offen offset:128// 0000000074D8: E07C1080 8005880A
	buffer_store_dwordx4 v[140:143], v11, s[20:23], 0 offen offset:128// 0000000074E0: E07C1080 80058C0B
	s_cmp_eq_u32 s37, 0                                        // 0000000074E8: BF068025
	s_cbranch_scc1 label_1082                                  // 0000000074EC: BF850006
	v_cmp_ge_f32_e64 s[40:41], v2, v31                         // 0000000074F0: D0460028 00023F02
	v_cndmask_b32_e64 v2, v31, v2, s[40:41]                    // 0000000074F8: D1000002 00A2051F
	buffer_store_dword v2, v3, s[24:27], 0 offen               // 000000007500: E0701000 80060203

0000000000007508 <label_1082>:
	s_waitcnt vmcnt(0) expcnt(0) lgkmcnt(0)                    // 000000007508: BF8C0000
	s_endpgm                                                   // 00000000750C: BF810000
